;; amdgpu-corpus repo=ROCm/rocFFT kind=compiled arch=gfx1030 opt=O3
	.text
	.amdgcn_target "amdgcn-amd-amdhsa--gfx1030"
	.amdhsa_code_object_version 6
	.protected	fft_rtc_fwd_len150_factors_10_5_3_wgs_60_tpt_5_halfLds_sp_op_CI_CI_unitstride_sbrr_R2C_dirReg ; -- Begin function fft_rtc_fwd_len150_factors_10_5_3_wgs_60_tpt_5_halfLds_sp_op_CI_CI_unitstride_sbrr_R2C_dirReg
	.globl	fft_rtc_fwd_len150_factors_10_5_3_wgs_60_tpt_5_halfLds_sp_op_CI_CI_unitstride_sbrr_R2C_dirReg
	.p2align	8
	.type	fft_rtc_fwd_len150_factors_10_5_3_wgs_60_tpt_5_halfLds_sp_op_CI_CI_unitstride_sbrr_R2C_dirReg,@function
fft_rtc_fwd_len150_factors_10_5_3_wgs_60_tpt_5_halfLds_sp_op_CI_CI_unitstride_sbrr_R2C_dirReg: ; @fft_rtc_fwd_len150_factors_10_5_3_wgs_60_tpt_5_halfLds_sp_op_CI_CI_unitstride_sbrr_R2C_dirReg
; %bb.0:
	s_load_dwordx4 s[12:15], s[4:5], 0x0
	v_mul_u32_u24_e32 v1, 0x3334, v0
	s_clause 0x1
	s_load_dwordx4 s[8:11], s[4:5], 0x58
	s_load_dwordx4 s[16:19], s[4:5], 0x18
	v_mov_b32_e32 v5, 0
	v_lshrrev_b32_e32 v3, 16, v1
	v_mov_b32_e32 v1, 0
	v_mov_b32_e32 v2, 0
	v_mad_u64_u32 v[3:4], null, s6, 12, v[3:4]
	v_mov_b32_e32 v4, v5
	v_mov_b32_e32 v39, v2
	;; [unrolled: 1-line block ×5, first 2 shown]
	s_waitcnt lgkmcnt(0)
	v_cmp_lt_u64_e64 s0, s[14:15], 2
	s_and_b32 vcc_lo, exec_lo, s0
	s_cbranch_vccnz .LBB0_8
; %bb.1:
	s_load_dwordx2 s[0:1], s[4:5], 0x10
	v_mov_b32_e32 v1, 0
	v_mov_b32_e32 v2, 0
	s_add_u32 s2, s18, 8
	v_mov_b32_e32 v8, v4
	s_addc_u32 s3, s19, 0
	v_mov_b32_e32 v7, v3
	v_mov_b32_e32 v39, v2
	s_add_u32 s6, s16, 8
	v_mov_b32_e32 v38, v1
	s_addc_u32 s7, s17, 0
	s_mov_b64 s[22:23], 1
	s_waitcnt lgkmcnt(0)
	s_add_u32 s20, s0, 8
	s_addc_u32 s21, s1, 0
.LBB0_2:                                ; =>This Inner Loop Header: Depth=1
	s_load_dwordx2 s[24:25], s[20:21], 0x0
                                        ; implicit-def: $vgpr42_vgpr43
	s_mov_b32 s0, exec_lo
	s_waitcnt lgkmcnt(0)
	v_or_b32_e32 v6, s25, v8
	v_cmpx_ne_u64_e32 0, v[5:6]
	s_xor_b32 s1, exec_lo, s0
	s_cbranch_execz .LBB0_4
; %bb.3:                                ;   in Loop: Header=BB0_2 Depth=1
	v_cvt_f32_u32_e32 v4, s24
	v_cvt_f32_u32_e32 v6, s25
	s_sub_u32 s0, 0, s24
	s_subb_u32 s26, 0, s25
	v_fmac_f32_e32 v4, 0x4f800000, v6
	v_rcp_f32_e32 v4, v4
	v_mul_f32_e32 v4, 0x5f7ffffc, v4
	v_mul_f32_e32 v6, 0x2f800000, v4
	v_trunc_f32_e32 v6, v6
	v_fmac_f32_e32 v4, 0xcf800000, v6
	v_cvt_u32_f32_e32 v6, v6
	v_cvt_u32_f32_e32 v4, v4
	v_mul_lo_u32 v9, s0, v6
	v_mul_hi_u32 v10, s0, v4
	v_mul_lo_u32 v11, s26, v4
	v_add_nc_u32_e32 v9, v10, v9
	v_mul_lo_u32 v10, s0, v4
	v_add_nc_u32_e32 v9, v9, v11
	v_mul_hi_u32 v11, v4, v10
	v_mul_lo_u32 v12, v4, v9
	v_mul_hi_u32 v13, v4, v9
	v_mul_hi_u32 v14, v6, v10
	v_mul_lo_u32 v10, v6, v10
	v_mul_hi_u32 v15, v6, v9
	v_mul_lo_u32 v9, v6, v9
	v_add_co_u32 v11, vcc_lo, v11, v12
	v_add_co_ci_u32_e32 v12, vcc_lo, 0, v13, vcc_lo
	v_add_co_u32 v10, vcc_lo, v11, v10
	v_add_co_ci_u32_e32 v10, vcc_lo, v12, v14, vcc_lo
	v_add_co_ci_u32_e32 v11, vcc_lo, 0, v15, vcc_lo
	v_add_co_u32 v9, vcc_lo, v10, v9
	v_add_co_ci_u32_e32 v10, vcc_lo, 0, v11, vcc_lo
	v_add_co_u32 v4, vcc_lo, v4, v9
	v_add_co_ci_u32_e32 v6, vcc_lo, v6, v10, vcc_lo
	v_mul_hi_u32 v9, s0, v4
	v_mul_lo_u32 v11, s26, v4
	v_mul_lo_u32 v10, s0, v6
	v_add_nc_u32_e32 v9, v9, v10
	v_mul_lo_u32 v10, s0, v4
	v_add_nc_u32_e32 v9, v9, v11
	v_mul_hi_u32 v11, v4, v10
	v_mul_lo_u32 v12, v4, v9
	v_mul_hi_u32 v13, v4, v9
	v_mul_hi_u32 v14, v6, v10
	v_mul_lo_u32 v10, v6, v10
	v_mul_hi_u32 v15, v6, v9
	v_mul_lo_u32 v9, v6, v9
	v_add_co_u32 v11, vcc_lo, v11, v12
	v_add_co_ci_u32_e32 v12, vcc_lo, 0, v13, vcc_lo
	v_add_co_u32 v10, vcc_lo, v11, v10
	v_add_co_ci_u32_e32 v10, vcc_lo, v12, v14, vcc_lo
	v_add_co_ci_u32_e32 v11, vcc_lo, 0, v15, vcc_lo
	v_add_co_u32 v9, vcc_lo, v10, v9
	v_add_co_ci_u32_e32 v10, vcc_lo, 0, v11, vcc_lo
	v_add_co_u32 v4, vcc_lo, v4, v9
	v_add_co_ci_u32_e32 v6, vcc_lo, v6, v10, vcc_lo
	v_mul_hi_u32 v15, v7, v4
	v_mad_u64_u32 v[11:12], null, v8, v4, 0
	v_mad_u64_u32 v[9:10], null, v7, v6, 0
	;; [unrolled: 1-line block ×3, first 2 shown]
	v_add_co_u32 v4, vcc_lo, v15, v9
	v_add_co_ci_u32_e32 v6, vcc_lo, 0, v10, vcc_lo
	v_add_co_u32 v4, vcc_lo, v4, v11
	v_add_co_ci_u32_e32 v4, vcc_lo, v6, v12, vcc_lo
	v_add_co_ci_u32_e32 v6, vcc_lo, 0, v14, vcc_lo
	v_add_co_u32 v4, vcc_lo, v4, v13
	v_add_co_ci_u32_e32 v6, vcc_lo, 0, v6, vcc_lo
	v_mul_lo_u32 v11, s25, v4
	v_mad_u64_u32 v[9:10], null, s24, v4, 0
	v_mul_lo_u32 v12, s24, v6
	v_sub_co_u32 v9, vcc_lo, v7, v9
	v_add3_u32 v10, v10, v12, v11
	v_sub_nc_u32_e32 v11, v8, v10
	v_subrev_co_ci_u32_e64 v11, s0, s25, v11, vcc_lo
	v_add_co_u32 v12, s0, v4, 2
	v_add_co_ci_u32_e64 v13, s0, 0, v6, s0
	v_sub_co_u32 v14, s0, v9, s24
	v_sub_co_ci_u32_e32 v10, vcc_lo, v8, v10, vcc_lo
	v_subrev_co_ci_u32_e64 v11, s0, 0, v11, s0
	v_cmp_le_u32_e32 vcc_lo, s24, v14
	v_cmp_eq_u32_e64 s0, s25, v10
	v_cndmask_b32_e64 v14, 0, -1, vcc_lo
	v_cmp_le_u32_e32 vcc_lo, s25, v11
	v_cndmask_b32_e64 v15, 0, -1, vcc_lo
	v_cmp_le_u32_e32 vcc_lo, s24, v9
	;; [unrolled: 2-line block ×3, first 2 shown]
	v_cndmask_b32_e64 v16, 0, -1, vcc_lo
	v_cmp_eq_u32_e32 vcc_lo, s25, v11
	v_cndmask_b32_e64 v9, v16, v9, s0
	v_cndmask_b32_e32 v11, v15, v14, vcc_lo
	v_add_co_u32 v14, vcc_lo, v4, 1
	v_add_co_ci_u32_e32 v15, vcc_lo, 0, v6, vcc_lo
	v_cmp_ne_u32_e32 vcc_lo, 0, v11
	v_cndmask_b32_e32 v10, v15, v13, vcc_lo
	v_cndmask_b32_e32 v11, v14, v12, vcc_lo
	v_cmp_ne_u32_e32 vcc_lo, 0, v9
	v_cndmask_b32_e32 v43, v6, v10, vcc_lo
	v_cndmask_b32_e32 v42, v4, v11, vcc_lo
.LBB0_4:                                ;   in Loop: Header=BB0_2 Depth=1
	s_andn2_saveexec_b32 s0, s1
	s_cbranch_execz .LBB0_6
; %bb.5:                                ;   in Loop: Header=BB0_2 Depth=1
	v_cvt_f32_u32_e32 v4, s24
	s_sub_i32 s1, 0, s24
	v_mov_b32_e32 v43, v5
	v_rcp_iflag_f32_e32 v4, v4
	v_mul_f32_e32 v4, 0x4f7ffffe, v4
	v_cvt_u32_f32_e32 v4, v4
	v_mul_lo_u32 v6, s1, v4
	v_mul_hi_u32 v6, v4, v6
	v_add_nc_u32_e32 v4, v4, v6
	v_mul_hi_u32 v4, v7, v4
	v_mul_lo_u32 v6, v4, s24
	v_add_nc_u32_e32 v9, 1, v4
	v_sub_nc_u32_e32 v6, v7, v6
	v_subrev_nc_u32_e32 v10, s24, v6
	v_cmp_le_u32_e32 vcc_lo, s24, v6
	v_cndmask_b32_e32 v6, v6, v10, vcc_lo
	v_cndmask_b32_e32 v4, v4, v9, vcc_lo
	v_cmp_le_u32_e32 vcc_lo, s24, v6
	v_add_nc_u32_e32 v9, 1, v4
	v_cndmask_b32_e32 v42, v4, v9, vcc_lo
.LBB0_6:                                ;   in Loop: Header=BB0_2 Depth=1
	s_or_b32 exec_lo, exec_lo, s0
	v_mul_lo_u32 v4, v43, s24
	v_mul_lo_u32 v6, v42, s25
	s_load_dwordx2 s[0:1], s[6:7], 0x0
	v_mad_u64_u32 v[9:10], null, v42, s24, 0
	s_load_dwordx2 s[24:25], s[2:3], 0x0
	s_add_u32 s22, s22, 1
	s_addc_u32 s23, s23, 0
	s_add_u32 s2, s2, 8
	s_addc_u32 s3, s3, 0
	s_add_u32 s6, s6, 8
	v_add3_u32 v4, v10, v6, v4
	v_sub_co_u32 v6, vcc_lo, v7, v9
	s_addc_u32 s7, s7, 0
	s_add_u32 s20, s20, 8
	v_sub_co_ci_u32_e32 v4, vcc_lo, v8, v4, vcc_lo
	s_addc_u32 s21, s21, 0
	s_waitcnt lgkmcnt(0)
	v_mul_lo_u32 v7, s0, v4
	v_mul_lo_u32 v8, s1, v6
	v_mad_u64_u32 v[1:2], null, s0, v6, v[1:2]
	v_mul_lo_u32 v4, s24, v4
	v_mul_lo_u32 v9, s25, v6
	v_mad_u64_u32 v[38:39], null, s24, v6, v[38:39]
	v_cmp_ge_u64_e64 s0, s[22:23], s[14:15]
	v_add3_u32 v2, v8, v2, v7
	v_add3_u32 v39, v9, v39, v4
	s_and_b32 vcc_lo, exec_lo, s0
	s_cbranch_vccnz .LBB0_8
; %bb.7:                                ;   in Loop: Header=BB0_2 Depth=1
	v_mov_b32_e32 v7, v42
	v_mov_b32_e32 v8, v43
	s_branch .LBB0_2
.LBB0_8:
	s_load_dwordx2 s[0:1], s[4:5], 0x28
	v_mul_hi_u32 v4, 0xaaaaaaab, v3
	s_lshl_b64 s[4:5], s[14:15], 3
                                        ; implicit-def: $vgpr36
                                        ; implicit-def: $vgpr40
                                        ; implicit-def: $vgpr46
                                        ; implicit-def: $vgpr49
                                        ; implicit-def: $vgpr48
                                        ; implicit-def: $vgpr45
                                        ; implicit-def: $vgpr52
                                        ; implicit-def: $vgpr44
                                        ; implicit-def: $vgpr51
                                        ; implicit-def: $vgpr50
                                        ; implicit-def: $vgpr47
	s_add_u32 s2, s18, s4
	s_addc_u32 s3, s19, s5
	v_lshrrev_b32_e32 v4, 3, v4
	v_mul_lo_u32 v5, v4, 12
	v_mul_hi_u32 v4, 0x33333334, v0
	s_waitcnt lgkmcnt(0)
	v_cmp_gt_u64_e32 vcc_lo, s[0:1], v[42:43]
	v_cmp_le_u64_e64 s0, s[0:1], v[42:43]
	v_sub_nc_u32_e32 v3, v3, v5
	s_and_saveexec_b32 s1, s0
	s_xor_b32 s0, exec_lo, s1
	s_cbranch_execz .LBB0_10
; %bb.9:
	v_mul_u32_u24_e32 v1, 5, v4
                                        ; implicit-def: $vgpr4
	v_sub_nc_u32_e32 v36, v0, v1
                                        ; implicit-def: $vgpr0
                                        ; implicit-def: $vgpr1_vgpr2
	v_add_nc_u32_e32 v40, 5, v36
	v_add_nc_u32_e32 v46, 10, v36
	;; [unrolled: 1-line block ×4, first 2 shown]
	v_or_b32_e32 v45, 40, v36
	v_add_nc_u32_e32 v52, 15, v36
	v_add_nc_u32_e32 v44, 45, v36
	;; [unrolled: 1-line block ×4, first 2 shown]
	v_or_b32_e32 v47, 0x50, v36
.LBB0_10:
	s_or_saveexec_b32 s1, s0
	v_mul_u32_u24_e32 v3, 0x97, v3
	v_lshlrev_b32_e32 v3, 3, v3
	s_xor_b32 exec_lo, exec_lo, s1
	s_cbranch_execz .LBB0_12
; %bb.11:
	s_add_u32 s4, s16, s4
	s_addc_u32 s5, s17, s5
	v_lshlrev_b64 v[1:2], 3, v[1:2]
	s_load_dwordx2 s[4:5], s[4:5], 0x0
	s_waitcnt lgkmcnt(0)
	v_mul_lo_u32 v7, s5, v42
	v_mul_lo_u32 v8, s4, v43
	v_mad_u64_u32 v[5:6], null, s4, v42, 0
	v_add3_u32 v6, v6, v8, v7
	v_mul_u32_u24_e32 v7, 5, v4
	v_lshlrev_b64 v[4:5], 3, v[5:6]
	v_sub_nc_u32_e32 v36, v0, v7
	v_lshlrev_b32_e32 v37, 3, v36
	v_add_co_u32 v0, s0, s8, v4
	v_add_co_ci_u32_e64 v4, s0, s9, v5, s0
	v_add_nc_u32_e32 v40, 5, v36
	v_add_co_u32 v0, s0, v0, v1
	v_add_co_ci_u32_e64 v1, s0, v4, v2, s0
	v_add_nc_u32_e32 v46, 10, v36
	v_add_co_u32 v0, s0, v0, v37
	v_add_co_ci_u32_e64 v1, s0, 0, v1, s0
	s_clause 0x1d
	global_load_dwordx2 v[4:5], v[0:1], off
	global_load_dwordx2 v[6:7], v[0:1], off offset:40
	global_load_dwordx2 v[8:9], v[0:1], off offset:80
	;; [unrolled: 1-line block ×29, first 2 shown]
	v_add_nc_u32_e32 v52, 15, v36
	v_add_nc_u32_e32 v51, 20, v36
	;; [unrolled: 1-line block ×4, first 2 shown]
	v_add3_u32 v2, 0, v3, v37
	v_add_nc_u32_e32 v48, 35, v36
	v_or_b32_e32 v45, 40, v36
	v_add_nc_u32_e32 v44, 45, v36
	v_or_b32_e32 v47, 0x50, v36
	s_waitcnt vmcnt(28)
	ds_write2_b64 v2, v[4:5], v[6:7] offset1:5
	s_waitcnt vmcnt(26)
	ds_write2_b64 v2, v[8:9], v[10:11] offset0:10 offset1:15
	s_waitcnt vmcnt(24)
	ds_write2_b64 v2, v[12:13], v[14:15] offset0:20 offset1:25
	;; [unrolled: 2-line block ×14, first 2 shown]
.LBB0_12:
	s_or_b32 exec_lo, exec_lo, s1
	v_lshlrev_b32_e32 v37, 3, v36
	v_add_nc_u32_e32 v57, 0, v3
	s_load_dwordx2 s[2:3], s[2:3], 0x0
	s_waitcnt lgkmcnt(0)
	s_barrier
	v_add3_u32 v41, 0, v37, v3
	v_add_nc_u32_e32 v58, v57, v37
	buffer_gl0_inv
	v_lshl_add_u32 v47, v47, 3, v57
	s_mov_b32 s1, exec_lo
	ds_read2_b64 v[0:3], v41 offset0:25 offset1:30
	ds_read2_b64 v[8:11], v41 offset0:55 offset1:60
	;; [unrolled: 1-line block ×8, first 2 shown]
	ds_read_b64 v[53:54], v58
	ds_read2_b64 v[16:19], v41 offset0:15 offset1:20
	ds_read_b64 v[55:56], v41 offset:1160
	s_waitcnt lgkmcnt(9)
	v_sub_f32_e32 v59, v2, v10
	s_waitcnt lgkmcnt(8)
	v_add_f32_e32 v70, v10, v14
	s_waitcnt lgkmcnt(7)
	v_sub_f32_e32 v100, v2, v6
	v_sub_f32_e32 v103, v10, v14
	s_waitcnt lgkmcnt(5)
	v_sub_f32_e32 v65, v29, v33
	s_waitcnt lgkmcnt(2)
	v_add_f32_e32 v69, v53, v2
	v_sub_f32_e32 v66, v21, v25
	v_sub_f32_e32 v63, v28, v32
	;; [unrolled: 1-line block ×3, first 2 shown]
	v_add_f32_e32 v67, v32, v24
	v_sub_f32_e32 v60, v6, v14
	v_add_f32_e32 v92, v65, v66
	v_add_f32_e32 v65, v69, v10
	v_sub_f32_e32 v10, v10, v2
	v_add_f32_e32 v2, v2, v6
	s_waitcnt lgkmcnt(1)
	v_fma_f32 v87, -0.5, v67, v16
	v_add_f32_e32 v67, v54, v3
	v_add_f32_e32 v91, v63, v64
	v_add_f32_e32 v64, v11, v15
	v_fma_f32 v96, -0.5, v70, v53
	v_fma_f32 v53, -0.5, v2, v53
	v_add_f32_e32 v2, v3, v7
	v_add_f32_e32 v93, v59, v60
	;; [unrolled: 1-line block ×3, first 2 shown]
	v_fma_f32 v99, -0.5, v64, v54
	v_sub_f32_e32 v61, v3, v11
	v_fmac_f32_e32 v54, -0.5, v2
	v_sub_f32_e32 v62, v7, v15
	v_sub_f32_e32 v88, v3, v7
	;; [unrolled: 1-line block ×3, first 2 shown]
	v_add_f32_e32 v60, v60, v15
	v_sub_f32_e32 v2, v11, v3
	v_sub_f32_e32 v3, v15, v7
	v_fmamk_f32 v15, v103, 0x3f737871, v54
	v_fmac_f32_e32 v54, 0xbf737871, v103
	v_sub_f32_e32 v84, v33, v25
	v_add_f32_e32 v59, v65, v14
	v_add_f32_e32 v2, v2, v3
	v_fmac_f32_e32 v15, 0xbf167918, v100
	v_fmac_f32_e32 v54, 0x3f167918, v100
	v_sub_f32_e32 v3, v24, v20
	v_sub_f32_e32 v83, v29, v21
	v_add_f32_e32 v98, v59, v6
	v_fmac_f32_e32 v15, 0x3e9e377a, v2
	v_fmac_f32_e32 v54, 0x3e9e377a, v2
	v_sub_f32_e32 v2, v32, v28
	v_sub_f32_e32 v14, v14, v6
	v_add_f32_e32 v104, v60, v7
	v_sub_f32_e32 v7, v25, v21
	v_sub_f32_e32 v86, v32, v24
	v_add_f32_e32 v2, v2, v3
	v_add_f32_e32 v3, v28, v20
	;; [unrolled: 1-line block ×3, first 2 shown]
	v_fmamk_f32 v14, v89, 0xbf737871, v53
	v_fmac_f32_e32 v53, 0x3f737871, v89
	v_sub_f32_e32 v85, v28, v20
	v_fma_f32 v3, -0.5, v3, v16
	v_add_f32_e32 v71, v16, v28
	v_fmac_f32_e32 v14, 0x3f167918, v88
	v_fmac_f32_e32 v53, 0xbf167918, v88
	v_add_f32_e32 v68, v33, v25
	v_fmamk_f32 v6, v84, 0xbf737871, v3
	v_fmac_f32_e32 v3, 0x3f737871, v84
	v_fmac_f32_e32 v14, 0x3e9e377a, v10
	v_fmac_f32_e32 v53, 0x3e9e377a, v10
	v_add_f32_e32 v72, v17, v29
	v_fmac_f32_e32 v6, 0x3f167918, v83
	v_fmac_f32_e32 v3, 0xbf167918, v83
	v_add_f32_e32 v59, v71, v32
	v_fma_f32 v90, -0.5, v68, v17
	v_fmamk_f32 v68, v83, 0x3f737871, v87
	v_fmac_f32_e32 v6, 0x3e9e377a, v2
	v_fmac_f32_e32 v3, 0x3e9e377a, v2
	v_sub_f32_e32 v2, v33, v29
	v_add_f32_e32 v94, v61, v62
	v_add_f32_e32 v61, v72, v33
	v_add_f32_e32 v59, v59, v24
	v_fmamk_f32 v63, v85, 0xbf737871, v90
	v_add_f32_e32 v2, v2, v7
	v_add_f32_e32 v7, v29, v21
	v_fmac_f32_e32 v68, 0x3f167918, v84
	v_add_f32_e32 v61, v61, v25
	v_add_f32_e32 v105, v59, v20
	v_fmac_f32_e32 v87, 0xbf737871, v83
	v_fma_f32 v7, -0.5, v7, v17
	v_mul_f32_e32 v17, 0xbf737871, v6
	v_fmac_f32_e32 v90, 0x3f737871, v85
	v_fmac_f32_e32 v63, 0xbf167918, v86
	;; [unrolled: 1-line block ×3, first 2 shown]
	v_fmamk_f32 v10, v86, 0x3f737871, v7
	v_fmac_f32_e32 v7, 0xbf737871, v86
	v_add_f32_e32 v106, v61, v21
	v_mul_u32_u24_e32 v59, 10, v36
	v_fmac_f32_e32 v87, 0xbf167918, v84
	v_fmac_f32_e32 v10, 0xbf167918, v85
	;; [unrolled: 1-line block ×5, first 2 shown]
	v_mul_f32_e32 v95, 0x3f4f1bbd, v68
	v_fmac_f32_e32 v10, 0x3e9e377a, v2
	v_fmac_f32_e32 v7, 0x3e9e377a, v2
	v_mul_f32_e32 v2, 0x3e9e377a, v3
	v_mul_f32_e32 v97, 0xbf167918, v68
	v_fmamk_f32 v101, v88, 0x3f737871, v96
	v_mul_f32_e32 v16, 0x3f737871, v10
	v_fmac_f32_e32 v17, 0x3e9e377a, v10
	v_fma_f32 v20, 0x3f737871, v7, -v2
	v_mul_f32_e32 v2, 0x3e9e377a, v7
	v_fmamk_f32 v102, v100, 0xbf737871, v99
	v_fmac_f32_e32 v16, 0x3e9e377a, v6
	v_lshl_add_u32 v107, v59, 3, v57
	v_add_f32_e32 v6, v53, v20
	v_fma_f32 v21, 0xbf737871, v3, -v2
	v_add_f32_e32 v3, v15, v17
	v_add_f32_e32 v2, v14, v16
	v_fmac_f32_e32 v96, 0xbf737871, v88
	v_fmac_f32_e32 v99, 0x3f737871, v100
	v_add_f32_e32 v7, v54, v21
	v_fmac_f32_e32 v87, 0x3e9e377a, v91
	v_fmac_f32_e32 v90, 0x3e9e377a, v92
	;; [unrolled: 1-line block ×6, first 2 shown]
	ds_read2_b64 v[59:62], v41 offset0:5 offset1:10
	ds_read2_b64 v[63:66], v41 offset0:35 offset1:40
	;; [unrolled: 1-line block ×5, first 2 shown]
	s_waitcnt lgkmcnt(0)
	s_barrier
	buffer_gl0_inv
	ds_write2_b64 v107, v[2:3], v[6:7] offset0:2 offset1:3
	v_fmac_f32_e32 v96, 0xbf167918, v89
	v_fmac_f32_e32 v99, 0x3f167918, v103
	v_mul_f32_e32 v2, 0x3f4f1bbd, v87
	v_mul_f32_e32 v3, 0x3f4f1bbd, v90
	v_fmac_f32_e32 v101, 0x3e9e377a, v93
	v_fmac_f32_e32 v102, 0x3e9e377a, v94
	;; [unrolled: 1-line block ×4, first 2 shown]
	v_fma_f32 v24, 0x3f167918, v90, -v2
	v_fma_f32 v25, 0xbf167918, v87, -v3
	v_add_f32_e32 v79, v98, v105
	v_add_f32_e32 v80, v104, v106
	;; [unrolled: 1-line block ×4, first 2 shown]
	v_sub_f32_e32 v2, v98, v105
	v_sub_f32_e32 v3, v104, v106
	v_add_f32_e32 v6, v96, v24
	v_add_f32_e32 v7, v99, v25
	v_sub_f32_e32 v15, v15, v17
	v_sub_f32_e32 v17, v54, v21
	;; [unrolled: 1-line block ×3, first 2 shown]
	v_add_f32_e32 v25, v19, v31
	v_sub_f32_e32 v10, v101, v95
	v_sub_f32_e32 v11, v102, v97
	;; [unrolled: 1-line block ×5, first 2 shown]
	v_add_f32_e32 v24, v18, v30
	ds_write2_b64 v107, v[79:80], v[81:82] offset1:1
	ds_write2_b64 v107, v[6:7], v[2:3] offset0:4 offset1:5
	ds_write2_b64 v107, v[10:11], v[14:15] offset0:6 offset1:7
	;; [unrolled: 1-line block ×3, first 2 shown]
	v_add_f32_e32 v3, v25, v35
	v_sub_f32_e32 v7, v30, v34
	v_add_f32_e32 v2, v24, v34
	v_sub_f32_e32 v10, v34, v30
	v_sub_f32_e32 v14, v31, v35
	;; [unrolled: 1-line block ×4, first 2 shown]
	v_add_f32_e32 v21, v30, v22
	v_sub_f32_e32 v24, v30, v22
	v_add_f32_e32 v25, v31, v23
	v_add_f32_e32 v3, v3, v27
	;; [unrolled: 1-line block ×6, first 2 shown]
	v_sub_f32_e32 v16, v35, v27
	v_add_f32_e32 v11, v35, v27
	v_sub_f32_e32 v29, v23, v27
	v_sub_f32_e32 v27, v27, v23
	v_add_f32_e32 v23, v3, v23
	v_add_f32_e32 v3, v30, v68
	;; [unrolled: 1-line block ×5, first 2 shown]
	v_sub_f32_e32 v17, v34, v26
	v_sub_f32_e32 v28, v22, v26
	;; [unrolled: 1-line block ×3, first 2 shown]
	v_add_f32_e32 v22, v2, v22
	v_add_f32_e32 v2, v59, v63
	;; [unrolled: 1-line block ×4, first 2 shown]
	v_sub_f32_e32 v80, v70, v74
	v_add_f32_e32 v83, v70, v74
	v_add_f32_e32 v2, v2, v67
	v_sub_f32_e32 v84, v66, v70
	v_sub_f32_e32 v70, v70, v66
	;; [unrolled: 1-line block ×3, first 2 shown]
	v_add_f32_e32 v66, v66, v78
	v_sub_f32_e32 v92, v78, v74
	v_sub_f32_e32 v74, v74, v78
	v_add_f32_e32 v31, v31, v78
	v_fma_f32 v78, -0.5, v11, v19
	v_fma_f32 v11, -0.5, v21, v18
	v_add_f32_e32 v79, v69, v73
	v_sub_f32_e32 v81, v65, v69
	v_sub_f32_e32 v82, v69, v65
	;; [unrolled: 1-line block ×3, first 2 shown]
	v_add_f32_e32 v88, v65, v77
	v_sub_f32_e32 v65, v65, v77
	v_add_f32_e32 v2, v2, v71
	v_sub_f32_e32 v91, v77, v73
	v_sub_f32_e32 v73, v73, v77
	v_add_f32_e32 v30, v30, v77
	v_fma_f32 v77, -0.5, v6, v18
	v_add_f32_e32 v29, v14, v29
	v_fmac_f32_e32 v19, -0.5, v25
	v_fmamk_f32 v14, v16, 0xbf737871, v11
	v_fmac_f32_e32 v11, 0x3f737871, v16
	v_add_f32_e32 v32, v67, v71
	v_sub_f32_e32 v34, v63, v67
	v_sub_f32_e32 v35, v67, v63
	v_add_f32_e32 v53, v68, v72
	v_sub_f32_e32 v54, v67, v71
	v_add_f32_e32 v86, v63, v75
	;; [unrolled: 2-line block ×3, first 2 shown]
	v_sub_f32_e32 v89, v75, v71
	v_sub_f32_e32 v71, v71, v75
	v_add_f32_e32 v75, v2, v75
	v_fmamk_f32 v2, v20, 0x3f737871, v77
	v_sub_f32_e32 v33, v68, v72
	v_sub_f32_e32 v67, v64, v68
	;; [unrolled: 1-line block ×4, first 2 shown]
	v_add_f32_e32 v64, v64, v76
	v_add_f32_e32 v10, v10, v26
	v_fmamk_f32 v26, v17, 0x3f737871, v19
	v_fmac_f32_e32 v19, 0xbf737871, v17
	v_fmac_f32_e32 v11, 0xbf167918, v20
	v_sub_f32_e32 v90, v76, v72
	v_sub_f32_e32 v72, v72, v76
	v_add_f32_e32 v76, v3, v76
	v_add_f32_e32 v28, v7, v28
	v_fmamk_f32 v3, v24, 0xbf737871, v78
	v_fmac_f32_e32 v2, 0x3f167918, v16
	v_fma_f32 v18, -0.5, v32, v59
	v_fma_f32 v21, -0.5, v53, v60
	v_add_f32_e32 v15, v15, v27
	v_fmac_f32_e32 v19, 0x3f167918, v24
	v_fmac_f32_e32 v11, 0x3e9e377a, v10
	v_fma_f32 v27, -0.5, v86, v59
	v_fmac_f32_e32 v26, 0xbf167918, v24
	v_fmac_f32_e32 v14, 0x3f167918, v20
	v_fma_f32 v60, -0.5, v64, v60
	v_fmac_f32_e32 v3, 0xbf167918, v17
	v_fmac_f32_e32 v2, 0x3e9e377a, v28
	v_fmamk_f32 v25, v85, 0x3f737871, v18
	v_fmamk_f32 v32, v63, 0xbf737871, v21
	v_fmac_f32_e32 v19, 0x3e9e377a, v15
	v_mul_f32_e32 v6, 0x3e9e377a, v11
	v_fmamk_f32 v59, v33, 0xbf737871, v27
	v_fmac_f32_e32 v27, 0x3f737871, v33
	v_fmac_f32_e32 v26, 0x3e9e377a, v15
	;; [unrolled: 1-line block ×3, first 2 shown]
	v_fmamk_f32 v64, v54, 0x3f737871, v60
	v_fmac_f32_e32 v60, 0xbf737871, v54
	v_fmac_f32_e32 v3, 0x3e9e377a, v29
	v_mul_f32_e32 v93, 0x3f4f1bbd, v2
	v_add_f32_e32 v34, v34, v89
	v_add_f32_e32 v67, v67, v90
	v_mul_f32_e32 v89, 0xbf167918, v2
	v_fmac_f32_e32 v25, 0x3f167918, v33
	v_fmac_f32_e32 v32, 0xbf167918, v54
	v_fma_f32 v53, 0x3f737871, v19, -v6
	v_mul_f32_e32 v19, 0x3e9e377a, v19
	v_add_f32_e32 v35, v35, v71
	v_fmac_f32_e32 v59, 0x3f167918, v85
	v_fmac_f32_e32 v27, 0xbf167918, v85
	v_add_f32_e32 v10, v68, v72
	v_mul_f32_e32 v68, 0x3f737871, v26
	v_mul_f32_e32 v71, 0xbf737871, v14
	v_fmac_f32_e32 v64, 0xbf167918, v63
	v_fmac_f32_e32 v60, 0x3f167918, v63
	;; [unrolled: 1-line block ×6, first 2 shown]
	v_mul_i32_i24_e32 v86, 10, v40
	v_fmac_f32_e32 v59, 0x3e9e377a, v35
	v_fmac_f32_e32 v27, 0x3e9e377a, v35
	;; [unrolled: 1-line block ×6, first 2 shown]
	v_fma_f32 v19, 0xbf737871, v11, -v19
	v_add_f32_e32 v2, v75, v22
	v_add_f32_e32 v3, v76, v23
	;; [unrolled: 1-line block ×4, first 2 shown]
	v_lshl_add_u32 v35, v86, 3, v57
	v_add_f32_e32 v26, v0, v8
	v_add_f32_e32 v72, v1, v9
	;; [unrolled: 1-line block ×6, first 2 shown]
	ds_write2_b64 v35, v[2:3], v[6:7] offset1:1
	ds_write2_b64 v35, v[10:11], v[14:15] offset0:2 offset1:3
	v_add_f32_e32 v2, v26, v12
	v_add_f32_e32 v3, v72, v13
	;; [unrolled: 1-line block ×3, first 2 shown]
	v_sub_f32_e32 v26, v13, v5
	v_sub_f32_e32 v72, v8, v12
	v_sub_f32_e32 v7, v12, v8
	v_add_f32_e32 v10, v13, v5
	v_sub_f32_e32 v86, v12, v4
	v_sub_f32_e32 v90, v9, v13
	;; [unrolled: 1-line block ×3, first 2 shown]
	v_add_f32_e32 v13, v8, v55
	v_add_f32_e32 v11, v9, v56
	v_sub_f32_e32 v95, v9, v56
	v_fma_f32 v94, -0.5, v10, v1
	v_sub_f32_e32 v10, v4, v55
	v_fma_f32 v9, -0.5, v13, v0
	v_fmac_f32_e32 v1, -0.5, v11
	v_fmac_f32_e32 v78, 0x3f737871, v24
	v_sub_f32_e32 v96, v8, v55
	v_sub_f32_e32 v8, v5, v56
	v_fmamk_f32 v99, v26, 0xbf737871, v9
	v_fmac_f32_e32 v9, 0x3f737871, v26
	v_fmamk_f32 v97, v86, 0x3f737871, v1
	v_fmac_f32_e32 v1, 0xbf737871, v86
	v_fma_f32 v83, -0.5, v83, v62
	v_fmac_f32_e32 v62, -0.5, v66
	v_add_f32_e32 v66, v7, v10
	v_fmac_f32_e32 v9, 0xbf167918, v95
	v_fmac_f32_e32 v77, 0xbf737871, v20
	;; [unrolled: 1-line block ×3, first 2 shown]
	v_add_f32_e32 v98, v12, v8
	v_fmac_f32_e32 v1, 0x3f167918, v96
	v_fmac_f32_e32 v9, 0x3e9e377a, v66
	;; [unrolled: 1-line block ×4, first 2 shown]
	v_add_f32_e32 v2, v2, v4
	v_fmac_f32_e32 v1, 0x3e9e377a, v98
	v_add_f32_e32 v70, v70, v74
	v_sub_f32_e32 v74, v55, v4
	v_mul_f32_e32 v4, 0x3e9e377a, v9
	v_fma_f32 v79, -0.5, v79, v61
	v_fma_f32 v61, -0.5, v88, v61
	v_fmac_f32_e32 v77, 0x3e9e377a, v28
	v_mul_f32_e32 v11, 0x3f4f1bbd, v78
	v_fmac_f32_e32 v18, 0xbf737871, v85
	v_add_f32_e32 v3, v3, v5
	v_mul_f32_e32 v7, 0x3e9e377a, v1
	v_fma_f32 v102, 0x3f737871, v1, -v4
	v_sub_f32_e32 v1, v76, v23
	v_fma_f32 v16, 0xbf167918, v77, -v11
	v_sub_f32_e32 v11, v27, v53
	v_fmamk_f32 v23, v87, 0x3f737871, v79
	v_fmac_f32_e32 v79, 0xbf737871, v87
	v_fmamk_f32 v27, v80, 0xbf737871, v61
	v_fmac_f32_e32 v61, 0x3f737871, v80
	v_fmac_f32_e32 v18, 0xbf167918, v33
	v_mul_f32_e32 v10, 0x3f4f1bbd, v77
	v_fma_f32 v101, -0.5, v6, v0
	v_add_f32_e32 v17, v81, v91
	v_fmac_f32_e32 v23, 0x3f167918, v80
	v_fmac_f32_e32 v79, 0xbf167918, v80
	v_add_f32_e32 v20, v3, v56
	v_add_f32_e32 v3, v82, v73
	v_fmamk_f32 v24, v65, 0xbf737871, v83
	v_fmac_f32_e32 v83, 0x3f737871, v65
	v_fmac_f32_e32 v27, 0x3f167918, v87
	;; [unrolled: 1-line block ×4, first 2 shown]
	v_fma_f32 v15, 0x3f167918, v78, -v10
	v_fmamk_f32 v100, v69, 0x3f737871, v62
	v_fmac_f32_e32 v62, 0xbf737871, v69
	v_fmac_f32_e32 v23, 0x3e9e377a, v17
	;; [unrolled: 1-line block ×3, first 2 shown]
	v_add_f32_e32 v17, v84, v92
	v_fmac_f32_e32 v24, 0xbf167918, v69
	v_fmac_f32_e32 v83, 0x3f167918, v69
	;; [unrolled: 1-line block ×4, first 2 shown]
	v_fmamk_f32 v3, v95, 0x3f737871, v101
	v_sub_f32_e32 v5, v56, v5
	v_add_f32_e32 v13, v18, v15
	v_sub_f32_e32 v15, v18, v15
	v_fmac_f32_e32 v101, 0xbf737871, v95
	v_fmamk_f32 v18, v96, 0xbf737871, v94
	v_fmac_f32_e32 v94, 0x3f737871, v96
	v_fmac_f32_e32 v21, 0x3f737871, v63
	;; [unrolled: 1-line block ×5, first 2 shown]
	v_add_f32_e32 v17, v72, v74
	v_fmac_f32_e32 v3, 0x3f167918, v26
	v_fmac_f32_e32 v99, 0x3f167918, v95
	;; [unrolled: 1-line block ×4, first 2 shown]
	v_add_f32_e32 v5, v90, v5
	v_fmac_f32_e32 v94, 0x3f167918, v86
	v_fmac_f32_e32 v21, 0x3f167918, v54
	v_fma_f32 v7, 0xbf737871, v9, -v7
	v_fmac_f32_e32 v62, 0x3e9e377a, v70
	v_fmac_f32_e32 v18, 0xbf167918, v86
	;; [unrolled: 1-line block ×8, first 2 shown]
	v_add_f32_e32 v4, v62, v7
	v_sub_f32_e32 v6, v62, v7
	v_sub_f32_e32 v7, v25, v93
	v_add_f32_e32 v2, v2, v55
	v_fmac_f32_e32 v18, 0x3e9e377a, v5
	v_mul_f32_e32 v25, 0x3f4f1bbd, v3
	v_mul_f32_e32 v26, 0xbf167918, v3
	v_fmac_f32_e32 v100, 0xbf167918, v65
	v_mul_f32_e32 v28, 0x3f737871, v97
	v_mul_f32_e32 v29, 0xbf737871, v99
	;; [unrolled: 1-line block ×4, first 2 shown]
	v_sub_f32_e32 v0, v75, v22
	v_add_f32_e32 v14, v21, v16
	v_sub_f32_e32 v12, v60, v19
	v_fmac_f32_e32 v25, 0x3f167918, v18
	v_fmac_f32_e32 v26, 0x3f4f1bbd, v18
	v_add_f32_e32 v17, v30, v2
	v_sub_f32_e32 v19, v30, v2
	v_mul_i32_i24_e32 v2, 10, v46
	v_fmac_f32_e32 v100, 0x3e9e377a, v70
	v_fmac_f32_e32 v28, 0x3e9e377a, v99
	;; [unrolled: 1-line block ×3, first 2 shown]
	v_sub_f32_e32 v8, v32, v89
	v_fma_f32 v32, 0x3f167918, v94, -v3
	v_fma_f32 v33, 0xbf167918, v101, -v5
	v_sub_f32_e32 v9, v59, v68
	v_sub_f32_e32 v10, v64, v71
	;; [unrolled: 1-line block ×3, first 2 shown]
	ds_write2_b64 v35, v[13:14], v[0:1] offset0:4 offset1:5
	v_lshlrev_b32_e32 v0, 2, v36
	v_mov_b32_e32 v1, 0
	v_add_f32_e32 v18, v31, v20
	v_add_f32_e32 v21, v23, v25
	;; [unrolled: 1-line block ×3, first 2 shown]
	v_lshl_add_u32 v2, v2, 3, v57
	v_add_f32_e32 v3, v61, v102
	v_sub_f32_e32 v23, v23, v25
	v_sub_f32_e32 v24, v24, v26
	v_add_f32_e32 v25, v27, v28
	v_add_f32_e32 v26, v100, v29
	v_sub_f32_e32 v20, v31, v20
	v_sub_f32_e32 v27, v27, v28
	;; [unrolled: 1-line block ×3, first 2 shown]
	v_add_f32_e32 v29, v79, v32
	v_add_f32_e32 v30, v83, v33
	ds_write2_b64 v35, v[7:8], v[9:10] offset0:6 offset1:7
	ds_write2_b64 v35, v[11:12], v[15:16] offset0:8 offset1:9
	ds_write2_b64 v2, v[17:18], v[21:22] offset1:1
	ds_write2_b64 v2, v[25:26], v[3:4] offset0:2 offset1:3
	ds_write2_b64 v2, v[29:30], v[19:20] offset0:4 offset1:5
	v_lshlrev_b64 v[3:4], 3, v[0:1]
	v_lshlrev_b32_e32 v0, 2, v40
	v_sub_f32_e32 v5, v61, v102
	v_sub_f32_e32 v31, v79, v32
	;; [unrolled: 1-line block ×3, first 2 shown]
	ds_write2_b64 v2, v[23:24], v[27:28] offset0:6 offset1:7
	ds_write2_b64 v2, v[5:6], v[31:32] offset0:8 offset1:9
	v_lshlrev_b64 v[5:6], 3, v[0:1]
	v_and_b32_e32 v0, 0xff, v51
	v_add_co_u32 v3, s0, s12, v3
	v_add_co_ci_u32_e64 v4, s0, s13, v4, s0
	v_add_co_u32 v5, s0, s12, v5
	v_mul_lo_u16 v0, 0xcd, v0
	v_add_co_ci_u32_e64 v6, s0, s13, v6, s0
	s_waitcnt lgkmcnt(0)
	s_barrier
	buffer_gl0_inv
	s_clause 0x1
	global_load_dwordx4 v[8:11], v[3:4], off offset:16
	global_load_dwordx4 v[12:15], v[5:6], off offset:16
	v_and_b32_e32 v7, 0xff, v50
	v_lshrrev_b16 v0, 11, v0
	v_mad_i32_i24 v22, 0xffffffb8, v46, v2
	v_mul_lo_u16 v7, 0xcd, v7
	v_mul_lo_u16 v0, v0, 10
	v_lshrrev_b16 v7, 11, v7
	v_sub_nc_u16 v0, v51, v0
	v_mul_lo_u16 v7, v7, 10
	v_and_b32_e32 v24, 0xff, v0
	v_sub_nc_u16 v0, v50, v7
	v_lshlrev_b32_e32 v7, 5, v24
	v_lshl_add_u32 v24, v24, 3, v57
	v_and_b32_e32 v23, 0xff, v0
	global_load_dwordx4 v[16:19], v7, s[12:13]
	v_lshlrev_b32_e32 v0, 5, v23
	s_clause 0x4
	global_load_dwordx4 v[27:30], v0, s[12:13]
	global_load_dwordx4 v[71:74], v7, s[12:13] offset:16
	global_load_dwordx4 v[77:80], v0, s[12:13] offset:16
	global_load_dwordx4 v[83:86], v[3:4], off
	global_load_dwordx4 v[87:90], v[5:6], off
	ds_read2_b64 v[31:34], v41 offset0:90 offset1:95
	ds_read2_b64 v[53:56], v41 offset0:120 offset1:125
	;; [unrolled: 1-line block ×5, first 2 shown]
	s_waitcnt vmcnt(7) lgkmcnt(4)
	v_mul_f32_e32 v0, v32, v9
	s_waitcnt vmcnt(6)
	v_mul_f32_e32 v3, v34, v13
	s_waitcnt lgkmcnt(3)
	v_mul_f32_e32 v76, v53, v11
	v_mul_f32_e32 v68, v55, v15
	s_waitcnt lgkmcnt(2)
	v_mul_f32_e32 v63, v59, v9
	v_fma_f32 v6, v31, v8, -v0
	v_mul_f32_e32 v0, v54, v11
	v_fma_f32 v69, v33, v12, -v3
	v_mul_f32_e32 v3, v56, v15
	v_fmac_f32_e32 v76, v54, v10
	v_fmac_f32_e32 v68, v56, v14
	v_fma_f32 v7, v53, v10, -v0
	v_mul_f32_e32 v0, v60, v9
	v_fma_f32 v70, v55, v14, -v3
	ds_read2_b64 v[53:56], v41 offset0:80 offset1:85
	s_waitcnt lgkmcnt(2)
	v_mul_f32_e32 v64, v91, v11
	v_fmac_f32_e32 v63, v60, v8
	v_fma_f32 v65, v59, v8, -v0
	v_mul_f32_e32 v0, v92, v11
	v_mul_f32_e32 v59, v61, v13
	v_mul_f32_e32 v60, v93, v15
	v_mul_f32_e32 v3, v62, v13
	v_mul_f32_e32 v75, v31, v9
	v_fma_f32 v66, v91, v10, -v0
	v_mul_f32_e32 v0, v94, v15
	v_fmac_f32_e32 v64, v92, v10
	v_fmac_f32_e32 v59, v62, v12
	v_fmac_f32_e32 v60, v94, v14
	v_mul_f32_e32 v67, v33, v13
	v_fma_f32 v62, v93, v14, -v0
	ds_read2_b64 v[91:94], v41 offset0:140 offset1:145
	v_fma_f32 v61, v61, v12, -v3
	s_waitcnt vmcnt(5) lgkmcnt(2)
	v_mul_f32_e32 v3, v96, v17
	v_fmac_f32_e32 v75, v32, v8
	ds_read2_b64 v[8:11], v41 offset0:110 offset1:115
	v_fmac_f32_e32 v67, v34, v12
	s_waitcnt lgkmcnt(2)
	v_mul_f32_e32 v33, v53, v19
	v_fma_f32 v34, v95, v16, -v3
	v_mul_f32_e32 v3, v54, v19
	s_waitcnt vmcnt(4)
	v_mul_f32_e32 v4, v98, v28
	v_mul_f32_e32 v0, v97, v28
	v_fmac_f32_e32 v33, v54, v18
	v_mul_f32_e32 v25, v55, v30
	v_fma_f32 v35, v53, v18, -v3
	ds_read2_b64 v[18:21], v41 offset0:60 offset1:65
	v_mul_f32_e32 v3, v56, v30
	v_fma_f32 v26, v97, v27, -v4
	v_fmac_f32_e32 v0, v98, v27
	v_fmac_f32_e32 v25, v56, v29
	v_lshl_add_u32 v15, v49, 3, v57
	v_fma_f32 v27, v55, v29, -v3
	s_waitcnt vmcnt(3) lgkmcnt(2)
	v_mul_f32_e32 v3, v92, v74
	s_waitcnt vmcnt(2)
	v_mul_f32_e32 v29, v93, v80
	v_mul_f32_e32 v32, v95, v17
	s_waitcnt lgkmcnt(1)
	v_mul_f32_e32 v4, v9, v72
	v_mul_f32_e32 v53, v8, v72
	v_fma_f32 v56, v91, v73, -v3
	v_mul_f32_e32 v3, v94, v80
	v_mul_f32_e32 v54, v91, v74
	v_fma_f32 v55, v8, v71, -v4
	v_mul_f32_e32 v4, v11, v78
	v_mul_f32_e32 v28, v10, v78
	v_lshl_add_u32 v14, v45, 3, v57
	v_fma_f32 v31, v93, v79, -v3
	v_fmac_f32_e32 v29, v94, v79
	ds_read_b64 v[79:80], v15
	s_waitcnt vmcnt(1) lgkmcnt(1)
	v_mul_f32_e32 v8, v18, v86
	v_fmac_f32_e32 v32, v96, v16
	v_fmac_f32_e32 v53, v9, v71
	;; [unrolled: 1-line block ×3, first 2 shown]
	ds_read_b64 v[91:92], v14
	v_fma_f32 v30, v10, v77, -v4
	v_fmac_f32_e32 v28, v11, v77
	s_waitcnt vmcnt(0)
	v_mul_f32_e32 v4, v21, v90
	v_mul_f32_e32 v77, v20, v90
	ds_read2_b64 v[71:74], v41 offset0:70 offset1:75
	v_lshl_add_u32 v16, v48, 3, v57
	v_lshl_add_u32 v17, v44, 3, v57
	v_mul_f32_e32 v3, v19, v86
	v_fmac_f32_e32 v8, v19, v85
	v_lshl_add_u32 v19, v40, 3, v57
	v_fma_f32 v82, v20, v89, -v4
	v_fmac_f32_e32 v77, v21, v89
	ds_read_b64 v[20:21], v16
	ds_read_b64 v[10:11], v19
	;; [unrolled: 1-line block ×4, first 2 shown]
	s_waitcnt lgkmcnt(6)
	v_mul_f32_e32 v81, v80, v84
	v_mul_f32_e32 v95, v79, v84
	v_fma_f32 v9, v18, v85, -v3
	v_sub_f32_e32 v98, v8, v75
	s_waitcnt lgkmcnt(5)
	v_mul_f32_e32 v96, v92, v84
	v_mul_f32_e32 v78, v91, v84
	v_fma_f32 v97, v79, v83, -v81
	v_fmac_f32_e32 v95, v80, v83
	v_sub_f32_e32 v99, v9, v6
	s_waitcnt lgkmcnt(4)
	v_mul_f32_e32 v81, v72, v86
	v_mul_f32_e32 v79, v71, v86
	v_mul_f32_e32 v84, v74, v90
	v_fma_f32 v80, v91, v83, -v96
	v_fmac_f32_e32 v78, v92, v83
	v_fma_f32 v81, v71, v85, -v81
	v_fmac_f32_e32 v79, v72, v85
	v_mul_f32_e32 v71, v73, v90
	v_fma_f32 v73, v73, v89, -v84
	s_waitcnt lgkmcnt(3)
	v_mul_f32_e32 v84, v21, v88
	v_mul_f32_e32 v83, v20, v88
	s_waitcnt lgkmcnt(0)
	v_mul_f32_e32 v85, v94, v88
	v_fmac_f32_e32 v71, v74, v89
	v_mul_f32_e32 v72, v93, v88
	v_fma_f32 v84, v20, v87, -v84
	v_fmac_f32_e32 v83, v21, v87
	v_fma_f32 v74, v93, v87, -v85
	v_sub_f32_e32 v20, v97, v9
	v_sub_f32_e32 v21, v7, v6
	v_add_f32_e32 v85, v12, v97
	v_sub_f32_e32 v89, v95, v8
	v_sub_f32_e32 v90, v76, v75
	v_fmac_f32_e32 v72, v94, v87
	v_add_f32_e32 v93, v20, v21
	v_add_f32_e32 v20, v85, v9
	v_add_f32_e32 v86, v13, v95
	v_add_f32_e32 v87, v9, v6
	v_add_f32_e32 v88, v8, v75
	v_sub_f32_e32 v96, v97, v7
	v_add_f32_e32 v20, v20, v6
	v_add_f32_e32 v100, v89, v90
	v_sub_f32_e32 v6, v6, v7
	v_add_f32_e32 v21, v86, v8
	v_fma_f32 v85, -0.5, v87, v12
	v_add_f32_e32 v89, v20, v7
	v_add_f32_e32 v20, v97, v7
	;; [unrolled: 1-line block ×3, first 2 shown]
	v_fma_f32 v86, -0.5, v88, v13
	v_sub_f32_e32 v94, v95, v76
	v_add_f32_e32 v21, v21, v75
	v_fma_f32 v12, -0.5, v20, v12
	v_fmac_f32_e32 v13, -0.5, v7
	v_fmamk_f32 v88, v96, 0xbf737871, v86
	v_fmamk_f32 v87, v94, 0x3f737871, v85
	v_sub_f32_e32 v95, v8, v95
	v_sub_f32_e32 v75, v75, v76
	v_fmamk_f32 v92, v99, 0x3f737871, v13
	v_fmac_f32_e32 v13, 0xbf737871, v99
	v_sub_f32_e32 v9, v9, v97
	v_fmamk_f32 v91, v98, 0xbf737871, v12
	v_fmac_f32_e32 v12, 0x3f737871, v98
	v_fmac_f32_e32 v87, 0x3f167918, v98
	;; [unrolled: 1-line block ×4, first 2 shown]
	v_add_f32_e32 v75, v95, v75
	v_fmac_f32_e32 v86, 0x3f737871, v96
	v_fmac_f32_e32 v92, 0xbf167918, v96
	;; [unrolled: 1-line block ×3, first 2 shown]
	v_add_f32_e32 v97, v9, v6
	v_fmac_f32_e32 v91, 0x3f167918, v94
	v_fmac_f32_e32 v12, 0xbf167918, v94
	v_lshl_add_u32 v18, v52, 3, v57
	v_add_f32_e32 v90, v21, v76
	v_fmac_f32_e32 v87, 0x3e9e377a, v93
	v_fmac_f32_e32 v88, 0x3e9e377a, v100
	v_lshl_add_u32 v21, v51, 3, v57
	v_fmac_f32_e32 v85, 0xbf167918, v98
	v_fmac_f32_e32 v86, 0x3f167918, v99
	;; [unrolled: 1-line block ×4, first 2 shown]
	v_add_f32_e32 v75, v10, v84
	v_lshl_add_u32 v20, v50, 3, v57
	v_fmac_f32_e32 v91, 0x3e9e377a, v97
	v_fmac_f32_e32 v12, 0x3e9e377a, v97
	ds_read_b64 v[2:3], v18
	ds_read_b64 v[4:5], v22
	;; [unrolled: 1-line block ×4, first 2 shown]
	s_waitcnt lgkmcnt(0)
	s_barrier
	buffer_gl0_inv
	v_fmac_f32_e32 v85, 0x3e9e377a, v93
	v_fmac_f32_e32 v86, 0x3e9e377a, v100
	ds_write2_b64 v41, v[89:90], v[87:88] offset1:10
	ds_write2_b64 v41, v[91:92], v[12:13] offset0:20 offset1:30
	v_add_f32_e32 v12, v11, v83
	v_add_f32_e32 v13, v75, v82
	v_sub_f32_e32 v75, v84, v82
	ds_write_b64 v41, v[85:86] offset:320
	v_sub_f32_e32 v76, v70, v69
	v_add_f32_e32 v12, v12, v77
	v_add_f32_e32 v13, v13, v69
	;; [unrolled: 1-line block ×4, first 2 shown]
	v_sub_f32_e32 v90, v84, v70
	v_sub_f32_e32 v94, v82, v69
	v_add_f32_e32 v95, v84, v70
	v_sub_f32_e32 v82, v82, v84
	v_add_f32_e32 v84, v83, v68
	v_add_f32_e32 v87, v75, v76
	;; [unrolled: 1-line block ×4, first 2 shown]
	v_fma_f32 v75, -0.5, v85, v10
	v_fma_f32 v76, -0.5, v86, v11
	v_sub_f32_e32 v89, v83, v68
	v_sub_f32_e32 v70, v69, v70
	v_fmac_f32_e32 v11, -0.5, v84
	v_sub_f32_e32 v93, v77, v67
	v_fma_f32 v10, -0.5, v95, v10
	v_sub_f32_e32 v91, v83, v77
	v_sub_f32_e32 v92, v68, v67
	v_fmamk_f32 v85, v89, 0x3f737871, v75
	v_fmamk_f32 v86, v90, 0xbf737871, v76
	v_add_f32_e32 v82, v82, v70
	v_sub_f32_e32 v77, v77, v83
	v_sub_f32_e32 v67, v67, v68
	v_fmamk_f32 v70, v94, 0x3f737871, v11
	v_fmac_f32_e32 v11, 0xbf737871, v94
	v_fmamk_f32 v69, v93, 0xbf737871, v10
	v_fmac_f32_e32 v10, 0x3f737871, v93
	v_add_f32_e32 v13, v88, v68
	v_add_f32_e32 v88, v91, v92
	v_fmac_f32_e32 v85, 0x3f167918, v93
	v_fmac_f32_e32 v86, 0xbf167918, v94
	;; [unrolled: 1-line block ×3, first 2 shown]
	v_add_f32_e32 v67, v77, v67
	v_fmac_f32_e32 v70, 0xbf167918, v90
	v_fmac_f32_e32 v76, 0x3f737871, v90
	;; [unrolled: 1-line block ×11, first 2 shown]
	v_add_f32_e32 v67, v4, v80
	v_fmac_f32_e32 v69, 0x3e9e377a, v82
	v_fmac_f32_e32 v10, 0x3e9e377a, v82
	;; [unrolled: 1-line block ×3, first 2 shown]
	v_add_f32_e32 v68, v5, v78
	v_fmac_f32_e32 v76, 0x3e9e377a, v88
	ds_write2_b64 v19, v[12:13], v[85:86] offset1:10
	ds_write2_b64 v19, v[69:70], v[10:11] offset0:20 offset1:30
	v_add_f32_e32 v10, v67, v81
	v_sub_f32_e32 v12, v80, v81
	v_add_f32_e32 v11, v68, v79
	ds_write_b64 v19, v[75:76] offset:320
	v_sub_f32_e32 v13, v66, v65
	v_add_f32_e32 v10, v10, v65
	v_add_f32_e32 v67, v81, v65
	;; [unrolled: 1-line block ×3, first 2 shown]
	v_sub_f32_e32 v70, v78, v79
	v_sub_f32_e32 v75, v64, v63
	v_add_f32_e32 v11, v11, v63
	v_add_f32_e32 v69, v12, v13
	;; [unrolled: 1-line block ×3, first 2 shown]
	v_fma_f32 v12, -0.5, v67, v4
	v_fma_f32 v13, -0.5, v68, v5
	v_add_f32_e32 v67, v70, v75
	v_add_f32_e32 v68, v80, v66
	v_sub_f32_e32 v70, v80, v66
	v_sub_f32_e32 v76, v81, v65
	;; [unrolled: 1-line block ×3, first 2 shown]
	v_add_f32_e32 v66, v78, v64
	v_add_f32_e32 v11, v11, v64
	v_sub_f32_e32 v75, v81, v80
	v_fma_f32 v4, -0.5, v68, v4
	v_sub_f32_e32 v68, v79, v63
	v_sub_f32_e32 v77, v79, v78
	;; [unrolled: 1-line block ×4, first 2 shown]
	v_fmac_f32_e32 v5, -0.5, v66
	v_fmamk_f32 v63, v68, 0xbf737871, v4
	v_add_f32_e32 v75, v75, v65
	v_fmac_f32_e32 v4, 0x3f737871, v68
	v_add_f32_e32 v77, v77, v64
	v_fmamk_f32 v65, v78, 0x3f737871, v12
	v_fmamk_f32 v66, v70, 0xbf737871, v13
	;; [unrolled: 1-line block ×3, first 2 shown]
	v_fmac_f32_e32 v5, 0xbf737871, v76
	v_fmac_f32_e32 v4, 0xbf167918, v78
	;; [unrolled: 1-line block ×14, first 2 shown]
	ds_write2_b64 v41, v[10:11], v[65:66] offset0:50 offset1:60
	ds_write_b64 v41, v[63:64] offset:560
	ds_write_b64 v47, v[4:5]
	v_add_f32_e32 v4, v2, v74
	v_add_f32_e32 v5, v3, v72
	v_fmac_f32_e32 v13, 0x3f737871, v70
	v_fmac_f32_e32 v12, 0xbf167918, v68
	v_add_f32_e32 v63, v71, v59
	v_add_f32_e32 v4, v4, v73
	;; [unrolled: 1-line block ×3, first 2 shown]
	v_fmac_f32_e32 v13, 0x3f167918, v76
	v_fmac_f32_e32 v12, 0x3e9e377a, v69
	v_sub_f32_e32 v68, v72, v71
	v_add_f32_e32 v64, v4, v61
	v_add_f32_e32 v66, v5, v59
	v_sub_f32_e32 v69, v60, v59
	v_add_f32_e32 v47, v73, v61
	v_fmac_f32_e32 v13, 0x3e9e377a, v67
	v_sub_f32_e32 v11, v62, v61
	v_fma_f32 v5, -0.5, v63, v3
	v_sub_f32_e32 v67, v74, v62
	v_sub_f32_e32 v75, v73, v61
	v_add_f32_e32 v63, v64, v62
	v_add_f32_e32 v64, v66, v60
	;; [unrolled: 1-line block ×4, first 2 shown]
	v_sub_f32_e32 v61, v61, v62
	v_add_f32_e32 v62, v72, v60
	v_sub_f32_e32 v10, v74, v73
	v_fma_f32 v4, -0.5, v47, v2
	v_sub_f32_e32 v47, v72, v60
	v_sub_f32_e32 v70, v71, v59
	;; [unrolled: 1-line block ×3, first 2 shown]
	v_fma_f32 v2, -0.5, v68, v2
	v_fmac_f32_e32 v3, -0.5, v62
	v_add_f32_e32 v65, v10, v11
	v_fmamk_f32 v10, v47, 0x3f737871, v4
	v_fmamk_f32 v11, v67, 0xbf737871, v5
	v_add_f32_e32 v68, v69, v61
	v_sub_f32_e32 v69, v71, v72
	v_fmamk_f32 v61, v70, 0xbf737871, v2
	v_fmac_f32_e32 v2, 0x3f737871, v70
	v_sub_f32_e32 v59, v59, v60
	v_fmamk_f32 v62, v75, 0x3f737871, v3
	v_fmac_f32_e32 v3, 0xbf737871, v75
	v_fmac_f32_e32 v10, 0x3f167918, v70
	;; [unrolled: 1-line block ×5, first 2 shown]
	v_add_f32_e32 v59, v69, v59
	v_fmac_f32_e32 v62, 0xbf167918, v67
	v_fmac_f32_e32 v3, 0x3f167918, v67
	;; [unrolled: 1-line block ×4, first 2 shown]
	ds_write_b64 v41, v[12:13] offset:720
	v_add_f32_e32 v12, v35, v55
	v_fmac_f32_e32 v61, 0x3e9e377a, v68
	v_fmac_f32_e32 v2, 0x3e9e377a, v68
	v_fmac_f32_e32 v62, 0x3e9e377a, v59
	v_fmac_f32_e32 v3, 0x3e9e377a, v59
	ds_write2_b64 v19, v[63:64], v[10:11] offset0:50 offset1:60
	ds_write2_b64 v19, v[61:62], v[2:3] offset0:70 offset1:80
	v_fma_f32 v2, -0.5, v12, v8
	v_sub_f32_e32 v3, v32, v54
	v_add_f32_e32 v13, v34, v56
	v_fmac_f32_e32 v4, 0xbf737871, v47
	v_sub_f32_e32 v11, v34, v35
	v_sub_f32_e32 v12, v56, v55
	v_fmamk_f32 v10, v3, 0x3f737871, v2
	v_sub_f32_e32 v47, v33, v53
	v_add_f32_e32 v59, v8, v34
	v_fma_f32 v8, -0.5, v13, v8
	v_fmac_f32_e32 v2, 0xbf737871, v3
	v_add_f32_e32 v11, v11, v12
	v_fmac_f32_e32 v10, 0x3f167918, v47
	v_sub_f32_e32 v13, v35, v34
	v_fmamk_f32 v12, v47, 0xbf737871, v8
	v_fmac_f32_e32 v8, 0x3f737871, v47
	v_fmac_f32_e32 v2, 0xbf167918, v47
	v_add_f32_e32 v47, v9, v32
	v_sub_f32_e32 v60, v55, v56
	v_fmac_f32_e32 v12, 0x3f167918, v3
	v_fmac_f32_e32 v8, 0xbf167918, v3
	v_add_f32_e32 v3, v59, v35
	v_add_f32_e32 v47, v47, v33
	v_fmac_f32_e32 v10, 0x3e9e377a, v11
	v_fmac_f32_e32 v2, 0x3e9e377a, v11
	v_add_f32_e32 v13, v13, v60
	v_add_f32_e32 v3, v3, v55
	;; [unrolled: 1-line block ×4, first 2 shown]
	v_sub_f32_e32 v34, v34, v56
	v_fmac_f32_e32 v12, 0x3e9e377a, v13
	v_add_f32_e32 v59, v3, v56
	v_add_f32_e32 v56, v32, v54
	v_fma_f32 v3, -0.5, v47, v9
	v_fmac_f32_e32 v8, 0x3e9e377a, v13
	v_add_f32_e32 v60, v11, v54
	v_sub_f32_e32 v13, v32, v33
	v_sub_f32_e32 v47, v54, v53
	v_sub_f32_e32 v35, v35, v55
	v_fmamk_f32 v11, v34, 0xbf737871, v3
	v_fmac_f32_e32 v3, 0x3f737871, v34
	v_fmac_f32_e32 v9, -0.5, v56
	v_sub_f32_e32 v32, v33, v32
	v_sub_f32_e32 v33, v53, v54
	v_add_f32_e32 v47, v13, v47
	v_fmac_f32_e32 v11, 0xbf167918, v35
	v_fmac_f32_e32 v3, 0x3f167918, v35
	v_fmamk_f32 v13, v35, 0x3f737871, v9
	v_fmac_f32_e32 v9, 0xbf737871, v35
	v_add_f32_e32 v33, v32, v33
	v_add_f32_e32 v32, v27, v30
	v_fmac_f32_e32 v11, 0x3e9e377a, v47
	v_fmac_f32_e32 v3, 0x3e9e377a, v47
	;; [unrolled: 1-line block ×3, first 2 shown]
	v_sub_f32_e32 v35, v26, v27
	v_sub_f32_e32 v47, v31, v30
	v_fmac_f32_e32 v9, 0x3f167918, v34
	v_add_f32_e32 v34, v26, v31
	v_fma_f32 v32, -0.5, v32, v6
	v_sub_f32_e32 v54, v0, v29
	v_add_f32_e32 v35, v35, v47
	v_add_f32_e32 v47, v6, v26
	v_fma_f32 v6, -0.5, v34, v6
	v_sub_f32_e32 v55, v25, v28
	v_fmamk_f32 v34, v54, 0x3f737871, v32
	v_fmac_f32_e32 v32, 0xbf737871, v54
	v_sub_f32_e32 v56, v27, v26
	v_sub_f32_e32 v61, v30, v31
	v_fmamk_f32 v53, v55, 0xbf737871, v6
	v_fmac_f32_e32 v6, 0x3f737871, v55
	v_fmac_f32_e32 v34, 0x3f167918, v55
	v_fmac_f32_e32 v32, 0xbf167918, v55
	v_add_f32_e32 v47, v47, v27
	v_fmac_f32_e32 v53, 0x3f167918, v54
	v_fmac_f32_e32 v6, 0xbf167918, v54
	v_add_f32_e32 v54, v7, v0
	v_add_f32_e32 v55, v56, v61
	v_fmac_f32_e32 v34, 0x3e9e377a, v35
	v_fmac_f32_e32 v32, 0x3e9e377a, v35
	v_add_f32_e32 v35, v47, v30
	v_fmac_f32_e32 v13, 0x3e9e377a, v33
	v_fmac_f32_e32 v9, 0x3e9e377a, v33
	v_add_f32_e32 v33, v54, v25
	v_add_f32_e32 v47, v25, v28
	v_fmac_f32_e32 v53, 0x3e9e377a, v55
	v_fmac_f32_e32 v6, 0x3e9e377a, v55
	v_add_f32_e32 v55, v35, v31
	v_sub_f32_e32 v26, v26, v31
	v_add_f32_e32 v31, v0, v29
	v_fmac_f32_e32 v5, 0x3f737871, v67
	v_sub_f32_e32 v35, v0, v25
	v_sub_f32_e32 v25, v25, v0
	v_lshlrev_b32_e32 v0, 1, v36
	v_add_f32_e32 v54, v33, v28
	v_fma_f32 v33, -0.5, v47, v7
	v_sub_f32_e32 v47, v29, v28
	v_sub_f32_e32 v27, v27, v30
	v_fmac_f32_e32 v7, -0.5, v31
	v_fmac_f32_e32 v4, 0xbf167918, v70
	v_fmac_f32_e32 v5, 0x3f167918, v75
	v_lshlrev_b64 v[63:64], 3, v[0:1]
	v_lshlrev_b32_e32 v0, 1, v40
	v_add_f32_e32 v30, v35, v47
	v_fmamk_f32 v35, v26, 0xbf737871, v33
	v_add_f32_e32 v56, v54, v29
	v_sub_f32_e32 v28, v28, v29
	v_fmamk_f32 v54, v27, 0x3f737871, v7
	v_fmac_f32_e32 v7, 0xbf737871, v27
	v_fmac_f32_e32 v33, 0x3f737871, v26
	;; [unrolled: 1-line block ×4, first 2 shown]
	v_lshlrev_b64 v[67:68], 3, v[0:1]
	v_lshlrev_b32_e32 v0, 1, v46
	v_fmac_f32_e32 v35, 0xbf167918, v27
	v_add_f32_e32 v25, v25, v28
	v_fmac_f32_e32 v54, 0xbf167918, v26
	v_fmac_f32_e32 v7, 0x3f167918, v26
	;; [unrolled: 1-line block ×3, first 2 shown]
	ds_write_b64 v19, v[4:5] offset:720
	ds_write2_b64 v24, v[59:60], v[10:11] offset0:100 offset1:110
	v_lshlrev_b64 v[4:5], 3, v[0:1]
	v_fmac_f32_e32 v35, 0x3e9e377a, v30
	v_lshl_add_u32 v10, v23, 3, v57
	v_fmac_f32_e32 v54, 0x3e9e377a, v25
	v_fmac_f32_e32 v7, 0x3e9e377a, v25
	v_lshlrev_b32_e32 v0, 1, v52
	v_fmac_f32_e32 v33, 0x3e9e377a, v30
	ds_write2_b64 v24, v[12:13], v[8:9] offset0:120 offset1:130
	ds_write_b64 v24, v[2:3] offset:1120
	ds_write2_b64 v10, v[55:56], v[34:35] offset0:100 offset1:110
	ds_write2_b64 v10, v[53:54], v[6:7] offset0:120 offset1:130
	ds_write_b64 v10, v[32:33] offset:1120
	v_add_co_u32 v2, s0, s12, v4
	v_add_co_ci_u32_e64 v3, s0, s13, v5, s0
	v_lshlrev_b64 v[4:5], 3, v[0:1]
	v_lshlrev_b32_e32 v0, 1, v51
	s_waitcnt lgkmcnt(0)
	s_barrier
	buffer_gl0_inv
	v_add_co_u32 v6, s0, s12, v4
	v_add_co_ci_u32_e64 v7, s0, s13, v5, s0
	v_lshlrev_b64 v[10:11], 3, v[0:1]
	v_lshlrev_b32_e32 v0, 1, v50
	s_clause 0x1
	global_load_dwordx4 v[2:5], v[2:3], off offset:320
	global_load_dwordx4 v[6:9], v[6:7], off offset:320
	v_lshlrev_b64 v[12:13], 3, v[0:1]
	v_add_co_u32 v10, s0, s12, v10
	v_lshlrev_b32_e32 v0, 1, v49
	v_add_co_ci_u32_e64 v11, s0, s13, v11, s0
	v_add_co_u32 v23, s0, s12, v12
	v_add_co_ci_u32_e64 v24, s0, s13, v13, s0
	v_lshlrev_b64 v[27:28], 3, v[0:1]
	global_load_dwordx4 v[10:13], v[10:11], off offset:320
	v_lshlrev_b32_e32 v0, 1, v48
	global_load_dwordx4 v[23:26], v[23:24], off offset:320
	v_add_co_u32 v27, s0, s12, v27
	v_add_co_ci_u32_e64 v28, s0, s13, v28, s0
	v_lshlrev_b64 v[31:32], 3, v[0:1]
	v_lshlrev_b32_e32 v0, 1, v45
	global_load_dwordx4 v[27:30], v[27:28], off offset:320
	v_add_co_u32 v31, s0, s12, v31
	v_lshlrev_b64 v[53:54], 3, v[0:1]
	v_lshlrev_b32_e32 v0, 1, v44
	v_add_co_ci_u32_e64 v32, s0, s13, v32, s0
	v_lshlrev_b64 v[59:60], 3, v[0:1]
	global_load_dwordx4 v[31:34], v[31:32], off offset:320
	v_add_co_u32 v53, s0, s12, v53
	v_add_co_ci_u32_e64 v54, s0, s13, v54, s0
	v_add_co_u32 v59, s0, s12, v59
	v_add_co_ci_u32_e64 v60, s0, s13, v60, s0
	global_load_dwordx4 v[53:56], v[53:54], off offset:320
	v_add_co_u32 v63, s0, s12, v63
	global_load_dwordx4 v[59:62], v[59:60], off offset:320
	v_add_co_ci_u32_e64 v64, s0, s13, v64, s0
	v_add_co_u32 v67, s0, s12, v67
	v_add_co_ci_u32_e64 v68, s0, s13, v68, s0
	s_clause 0x1
	global_load_dwordx4 v[63:66], v[63:64], off offset:320
	global_load_dwordx4 v[67:70], v[67:68], off offset:320
	ds_read2_b64 v[71:74], v41 offset0:60 offset1:65
	ds_read2_b64 v[75:78], v41 offset0:110 offset1:115
	;; [unrolled: 1-line block ×4, first 2 shown]
	s_waitcnt vmcnt(9) lgkmcnt(3)
	v_mul_f32_e32 v0, v72, v3
	v_mul_f32_e32 v35, v71, v3
	s_waitcnt lgkmcnt(2)
	v_mul_f32_e32 v3, v76, v5
	v_mul_f32_e32 v47, v75, v5
	s_waitcnt vmcnt(8)
	v_mul_f32_e32 v5, v74, v7
	v_fma_f32 v0, v71, v2, -v0
	v_fmac_f32_e32 v35, v72, v2
	v_fma_f32 v71, v75, v4, -v3
	v_fmac_f32_e32 v47, v76, v4
	v_mul_f32_e32 v72, v73, v7
	v_fma_f32 v73, v73, v6, -v5
	ds_read2_b64 v[2:5], v41 offset0:80 offset1:85
	v_mul_f32_e32 v7, v78, v9
	v_mul_f32_e32 v75, v77, v9
	v_fmac_f32_e32 v72, v74, v6
	s_waitcnt vmcnt(7) lgkmcnt(2)
	v_mul_f32_e32 v74, v80, v11
	v_mul_f32_e32 v76, v79, v11
	v_fma_f32 v77, v77, v8, -v7
	v_fmac_f32_e32 v75, v78, v8
	ds_read2_b64 v[6:9], v41 offset0:130 offset1:135
	s_waitcnt lgkmcnt(2)
	v_mul_f32_e32 v11, v84, v13
	v_mul_f32_e32 v78, v83, v13
	s_waitcnt vmcnt(6)
	v_mul_f32_e32 v13, v82, v24
	v_fma_f32 v74, v79, v10, -v74
	v_fmac_f32_e32 v76, v80, v10
	v_mul_f32_e32 v79, v81, v24
	v_fma_f32 v80, v83, v12, -v11
	v_fmac_f32_e32 v78, v84, v12
	v_fma_f32 v81, v81, v23, -v13
	v_mul_f32_e32 v24, v86, v26
	v_mul_f32_e32 v83, v85, v26
	ds_read2_b64 v[10:13], v41 offset0:90 offset1:95
	s_waitcnt vmcnt(5) lgkmcnt(2)
	v_mul_f32_e32 v84, v3, v28
	v_fmac_f32_e32 v79, v82, v23
	v_fma_f32 v82, v85, v25, -v24
	v_fmac_f32_e32 v83, v86, v25
	ds_read2_b64 v[23:26], v41 offset0:140 offset1:145
	v_fma_f32 v84, v2, v27, -v84
	v_mul_f32_e32 v85, v2, v28
	s_waitcnt lgkmcnt(2)
	v_mul_f32_e32 v2, v7, v30
	v_mul_f32_e32 v86, v6, v30
	s_waitcnt vmcnt(4)
	v_mul_f32_e32 v28, v5, v32
	v_mul_f32_e32 v87, v4, v32
	v_fmac_f32_e32 v85, v3, v27
	v_fma_f32 v88, v6, v29, -v2
	v_mul_f32_e32 v2, v9, v34
	v_fmac_f32_e32 v86, v7, v29
	v_fma_f32 v89, v4, v31, -v28
	v_fmac_f32_e32 v87, v5, v31
	ds_read_b64 v[6:7], v41 offset:400
	v_fma_f32 v91, v8, v33, -v2
	ds_read2_b64 v[2:5], v41 offset0:100 offset1:105
	v_mul_f32_e32 v90, v8, v34
	s_waitcnt vmcnt(3) lgkmcnt(3)
	v_mul_f32_e32 v8, v11, v54
	v_mul_f32_e32 v92, v10, v54
	s_waitcnt vmcnt(2)
	v_mul_f32_e32 v96, v12, v60
	s_waitcnt lgkmcnt(2)
	v_mul_f32_e32 v93, v23, v56
	v_fmac_f32_e32 v90, v9, v33
	v_mul_f32_e32 v9, v24, v56
	v_fma_f32 v94, v10, v53, -v8
	v_mul_f32_e32 v8, v13, v60
	v_fmac_f32_e32 v92, v11, v53
	v_fmac_f32_e32 v93, v24, v55
	v_fma_f32 v95, v23, v55, -v9
	v_fmac_f32_e32 v96, v13, v59
	v_fma_f32 v97, v12, v59, -v8
	ds_read2_b32 v[8:9], v41 offset0:110 offset1:111
	ds_read_b64 v[10:11], v58
	v_mul_f32_e32 v12, v26, v62
	v_mul_f32_e32 v62, v25, v62
	s_waitcnt vmcnt(1) lgkmcnt(3)
	v_mul_f32_e32 v13, v64, v7
	v_mul_f32_e32 v23, v64, v6
	s_waitcnt lgkmcnt(2)
	v_mul_f32_e32 v24, v66, v2
	v_fma_f32 v64, v25, v61, -v12
	v_mul_f32_e32 v12, v66, v3
	v_fma_f32 v6, v63, v6, -v13
	v_fmac_f32_e32 v23, v63, v7
	s_waitcnt vmcnt(0)
	v_mul_f32_e32 v7, v5, v70
	v_fmac_f32_e32 v24, v65, v3
	v_fma_f32 v12, v65, v2, -v12
	v_mul_f32_e32 v53, v4, v70
	v_fmac_f32_e32 v62, v26, v61
	v_fma_f32 v54, v4, v69, -v7
	v_add_f32_e32 v3, v23, v24
	v_add_f32_e32 v2, v6, v12
	v_fmac_f32_e32 v53, v5, v69
	s_waitcnt lgkmcnt(1)
	v_mul_f32_e32 v4, v9, v68
	s_waitcnt lgkmcnt(0)
	v_add_f32_e32 v13, v10, v6
	v_add_f32_e32 v25, v11, v23
	v_fma_f32 v10, -0.5, v2, v10
	v_fmac_f32_e32 v11, -0.5, v3
	v_fma_f32 v56, v67, v8, -v4
	v_sub_f32_e32 v60, v6, v12
	ds_read_b64 v[2:3], v22
	ds_read_b64 v[4:5], v16
	;; [unrolled: 1-line block ×3, first 2 shown]
	v_mul_f32_e32 v55, v68, v8
	v_sub_f32_e32 v59, v23, v24
	v_add_f32_e32 v8, v13, v12
	v_fmamk_f32 v13, v60, 0xbf5db3d7, v11
	v_fmac_f32_e32 v11, 0x3f5db3d7, v60
	v_fmac_f32_e32 v55, v9, v67
	v_add_f32_e32 v9, v25, v24
	v_fmamk_f32 v12, v59, 0x3f5db3d7, v10
	ds_read_b64 v[23:24], v20
	ds_read_b64 v[25:26], v15
	;; [unrolled: 1-line block ×6, first 2 shown]
	s_waitcnt lgkmcnt(0)
	s_barrier
	buffer_gl0_inv
	ds_write2_b64 v41, v[8:9], v[12:13] offset1:50
	v_add_f32_e32 v8, v56, v54
	v_fmac_f32_e32 v10, 0xbf5db3d7, v59
	v_add_f32_e32 v9, v55, v53
	v_sub_f32_e32 v61, v73, v77
	v_add_f32_e32 v12, v6, v56
	v_add_f32_e32 v13, v7, v55
	v_fma_f32 v6, -0.5, v8, v6
	v_fmac_f32_e32 v7, -0.5, v9
	ds_write_b64 v41, v[10:11] offset:800
	v_add_f32_e32 v8, v12, v54
	v_add_f32_e32 v9, v13, v53
	;; [unrolled: 1-line block ×5, first 2 shown]
	v_sub_f32_e32 v55, v55, v53
	v_add_f32_e32 v53, v35, v47
	v_fma_f32 v2, -0.5, v12, v2
	v_sub_f32_e32 v35, v35, v47
	v_add_f32_e32 v13, v13, v47
	v_add_f32_e32 v12, v41, v71
	;; [unrolled: 1-line block ×4, first 2 shown]
	v_sub_f32_e32 v56, v56, v54
	v_fmac_f32_e32 v3, -0.5, v53
	v_sub_f32_e32 v0, v0, v71
	v_fmamk_f32 v53, v35, 0x3f5db3d7, v2
	v_fmac_f32_e32 v2, 0xbf5db3d7, v35
	v_add_f32_e32 v35, v31, v73
	v_fma_f32 v31, -0.5, v41, v31
	v_add_f32_e32 v41, v32, v72
	v_fmac_f32_e32 v32, -0.5, v47
	v_sub_f32_e32 v47, v72, v75
	v_fmamk_f32 v10, v55, 0x3f5db3d7, v6
	v_fmamk_f32 v11, v56, 0xbf5db3d7, v7
	;; [unrolled: 1-line block ×3, first 2 shown]
	v_fmac_f32_e32 v3, 0x3f5db3d7, v0
	v_add_f32_e32 v0, v74, v80
	v_fmac_f32_e32 v6, 0xbf5db3d7, v55
	v_fmac_f32_e32 v7, 0x3f5db3d7, v56
	v_add_f32_e32 v55, v35, v77
	v_add_f32_e32 v56, v41, v75
	v_fmamk_f32 v59, v47, 0x3f5db3d7, v31
	v_fmamk_f32 v60, v61, 0xbf5db3d7, v32
	ds_write2_b64 v19, v[8:9], v[10:11] offset1:50
	ds_write_b64 v19, v[6:7] offset:800
	ds_write2_b64 v22, v[12:13], v[53:54] offset1:50
	ds_write_b64 v22, v[2:3] offset:800
	ds_write2_b64 v18, v[55:56], v[59:60] offset1:50
	v_add_f32_e32 v2, v76, v78
	v_add_f32_e32 v3, v27, v74
	v_fma_f32 v27, -0.5, v0, v27
	v_add_f32_e32 v0, v28, v76
	v_sub_f32_e32 v8, v76, v78
	v_fmac_f32_e32 v28, -0.5, v2
	v_add_f32_e32 v2, v3, v80
	v_sub_f32_e32 v9, v74, v80
	v_add_f32_e32 v3, v0, v78
	v_add_f32_e32 v0, v81, v82
	;; [unrolled: 1-line block ×3, first 2 shown]
	v_fmac_f32_e32 v31, 0xbf5db3d7, v47
	v_fmac_f32_e32 v32, 0x3f5db3d7, v61
	v_fmamk_f32 v6, v8, 0x3f5db3d7, v27
	v_fma_f32 v23, -0.5, v0, v23
	v_add_f32_e32 v0, v24, v79
	v_fmamk_f32 v7, v9, 0xbf5db3d7, v28
	v_fmac_f32_e32 v27, 0xbf5db3d7, v8
	v_add_f32_e32 v8, v79, v83
	v_fmac_f32_e32 v28, 0x3f5db3d7, v9
	v_add_f32_e32 v9, v0, v83
	v_add_f32_e32 v0, v84, v88
	v_sub_f32_e32 v12, v79, v83
	v_fmac_f32_e32 v24, -0.5, v8
	v_sub_f32_e32 v13, v81, v82
	ds_write_b64 v18, v[31:32] offset:800
	ds_write2_b64 v21, v[2:3], v[6:7] offset1:50
	ds_write_b64 v21, v[27:28] offset:800
	v_add_f32_e32 v2, v25, v84
	v_fma_f32 v25, -0.5, v0, v25
	v_sub_f32_e32 v0, v85, v86
	v_add_f32_e32 v8, v10, v82
	v_fmamk_f32 v10, v12, 0x3f5db3d7, v23
	v_fmamk_f32 v11, v13, 0xbf5db3d7, v24
	v_add_f32_e32 v7, v85, v86
	v_fmamk_f32 v6, v0, 0x3f5db3d7, v25
	v_fmac_f32_e32 v25, 0xbf5db3d7, v0
	v_add_f32_e32 v0, v89, v91
	ds_write2_b64 v20, v[8:9], v[10:11] offset1:50
	v_add_f32_e32 v3, v26, v85
	v_fmac_f32_e32 v26, -0.5, v7
	v_add_f32_e32 v7, v4, v89
	v_sub_f32_e32 v10, v84, v88
	v_add_f32_e32 v11, v87, v90
	v_fma_f32 v4, -0.5, v0, v4
	v_sub_f32_e32 v0, v87, v90
	v_fmac_f32_e32 v23, 0xbf5db3d7, v12
	v_fmac_f32_e32 v24, 0x3f5db3d7, v13
	v_add_f32_e32 v9, v5, v87
	v_add_f32_e32 v8, v7, v91
	v_fmac_f32_e32 v5, -0.5, v11
	v_sub_f32_e32 v12, v89, v91
	v_fmamk_f32 v7, v10, 0xbf5db3d7, v26
	v_fmac_f32_e32 v26, 0x3f5db3d7, v10
	v_fmamk_f32 v10, v0, 0x3f5db3d7, v4
	v_add_f32_e32 v13, v94, v95
	v_fmac_f32_e32 v4, 0xbf5db3d7, v0
	v_add_f32_e32 v0, v33, v94
	v_add_f32_e32 v22, v34, v92
	v_fmamk_f32 v11, v12, 0xbf5db3d7, v5
	v_fma_f32 v33, -0.5, v13, v33
	v_sub_f32_e32 v28, v92, v93
	v_fmac_f32_e32 v5, 0x3f5db3d7, v12
	v_add_f32_e32 v31, v92, v93
	v_add_f32_e32 v13, v22, v93
	;; [unrolled: 1-line block ×6, first 2 shown]
	v_fmamk_f32 v27, v28, 0x3f5db3d7, v33
	v_fmac_f32_e32 v33, 0xbf5db3d7, v28
	v_fmac_f32_e32 v34, -0.5, v31
	v_add_f32_e32 v28, v30, v96
	v_sub_f32_e32 v35, v94, v95
	v_fma_f32 v29, -0.5, v0, v29
	v_add_f32_e32 v31, v22, v64
	v_sub_f32_e32 v0, v96, v62
	v_fmac_f32_e32 v30, -0.5, v41
	v_sub_f32_e32 v22, v97, v64
	v_add_f32_e32 v3, v3, v86
	v_add_f32_e32 v2, v2, v88
	;; [unrolled: 1-line block ×4, first 2 shown]
	v_fmamk_f32 v28, v35, 0xbf5db3d7, v34
	v_fmac_f32_e32 v34, 0x3f5db3d7, v35
	v_fmamk_f32 v53, v0, 0x3f5db3d7, v29
	v_fmac_f32_e32 v29, 0xbf5db3d7, v0
	;; [unrolled: 2-line block ×3, first 2 shown]
	ds_write_b64 v20, v[23:24] offset:800
	ds_write2_b64 v15, v[2:3], v[6:7] offset1:50
	ds_write_b64 v15, v[25:26] offset:800
	ds_write2_b64 v16, v[8:9], v[10:11] offset1:50
	;; [unrolled: 2-line block ×4, first 2 shown]
	ds_write_b64 v17, v[29:30] offset:800
	s_waitcnt lgkmcnt(0)
	s_barrier
	buffer_gl0_inv
	ds_read_b64 v[6:7], v58
	v_sub_nc_u32_e32 v0, v57, v37
                                        ; implicit-def: $vgpr5
                                        ; implicit-def: $vgpr8
                                        ; implicit-def: $vgpr2_vgpr3
	v_cmpx_ne_u32_e32 0, v36
	s_xor_b32 s1, exec_lo, s1
	s_cbranch_execz .LBB0_14
; %bb.13:
	v_mov_b32_e32 v37, v1
	ds_read_b64 v[3:4], v0 offset:1200
	v_lshlrev_b64 v[1:2], 3, v[36:37]
	v_add_co_u32 v1, s0, s12, v1
	v_add_co_ci_u32_e64 v2, s0, s13, v2, s0
	global_load_dwordx2 v[1:2], v[1:2], off offset:1120
	s_waitcnt lgkmcnt(0)
	v_sub_f32_e32 v5, v6, v3
	v_add_f32_e32 v8, v4, v7
	v_sub_f32_e32 v4, v7, v4
	v_add_f32_e32 v3, v3, v6
	v_mul_f32_e32 v5, 0.5, v5
	v_mul_f32_e32 v6, 0.5, v8
	;; [unrolled: 1-line block ×3, first 2 shown]
	s_waitcnt vmcnt(0)
	v_mul_f32_e32 v7, v2, v5
	v_fma_f32 v8, v6, v2, v4
	v_fma_f32 v2, v6, v2, -v4
	v_fma_f32 v9, 0.5, v3, v7
	v_fma_f32 v3, v3, 0.5, -v7
	v_fma_f32 v8, -v1, v5, v8
	v_fma_f32 v5, -v1, v5, v2
	v_fmac_f32_e32 v9, v1, v6
	v_fma_f32 v4, -v1, v6, v3
	v_mov_b32_e32 v2, v36
	v_mov_b32_e32 v3, v37
                                        ; implicit-def: $vgpr6_vgpr7
	ds_write_b32 v58, v9
.LBB0_14:
	s_andn2_saveexec_b32 s0, s1
	s_cbranch_execz .LBB0_16
; %bb.15:
	ds_read_b32 v1, v57 offset:604
	v_mov_b32_e32 v8, 0
	v_mov_b32_e32 v2, 0
	s_waitcnt lgkmcnt(1)
	v_add_f32_e32 v9, v6, v7
	v_sub_f32_e32 v4, v6, v7
	v_mov_b32_e32 v3, 0
	v_mov_b32_e32 v5, v8
	s_waitcnt lgkmcnt(0)
	v_xor_b32_e32 v1, 0x80000000, v1
	ds_write_b32 v58, v9
	ds_write_b32 v57, v1 offset:604
.LBB0_16:
	s_or_b32 exec_lo, exec_lo, s0
	v_mov_b32_e32 v41, 0
	v_lshl_add_u32 v33, v46, 3, v57
	s_waitcnt lgkmcnt(0)
	v_lshlrev_b64 v[6:7], 3, v[40:41]
	v_mov_b32_e32 v47, v41
	v_mov_b32_e32 v53, v41
	v_lshlrev_b64 v[9:10], 3, v[46:47]
	v_add_co_u32 v6, s0, s12, v6
	v_add_co_ci_u32_e64 v7, s0, s13, v7, s0
	v_lshlrev_b64 v[11:12], 3, v[52:53]
	v_add_co_u32 v9, s0, s12, v9
	global_load_dwordx2 v[6:7], v[6:7], off offset:1120
	v_add_co_ci_u32_e64 v10, s0, s13, v10, s0
	v_add_co_u32 v11, s0, s12, v11
	v_add_co_ci_u32_e64 v12, s0, s13, v12, s0
	global_load_dwordx2 v[9:10], v[9:10], off offset:1120
	v_mov_b32_e32 v52, v41
	v_mov_b32_e32 v46, v41
	global_load_dwordx2 v[11:12], v[11:12], off offset:1120
	v_lshlrev_b64 v[22:23], 3, v[51:52]
	v_mov_b32_e32 v51, v41
	v_add_co_u32 v22, s0, s12, v22
	v_add_co_ci_u32_e64 v23, s0, s13, v23, s0
	v_lshlrev_b64 v[24:25], 3, v[50:51]
	v_mov_b32_e32 v50, v41
	global_load_dwordx2 v[22:23], v[22:23], off offset:1120
	v_add_co_u32 v24, s0, s12, v24
	v_add_co_ci_u32_e64 v25, s0, s13, v25, s0
	v_lshlrev_b64 v[26:27], 3, v[49:50]
	v_mov_b32_e32 v49, v41
	global_load_dwordx2 v[24:25], v[24:25], off offset:1120
	v_add_co_u32 v26, s0, s12, v26
	v_add_co_ci_u32_e64 v27, s0, s13, v27, s0
	v_lshlrev_b64 v[28:29], 3, v[48:49]
	global_load_dwordx2 v[26:27], v[26:27], off offset:1120
	ds_write_b32 v58, v8 offset:4
	ds_write_b64 v0, v[4:5] offset:1200
	v_add_co_u32 v4, s0, s12, v28
	v_add_co_ci_u32_e64 v5, s0, s13, v29, s0
	ds_read_b64 v[28:29], v19
	ds_read_b64 v[30:31], v0 offset:1160
	global_load_dwordx2 v[4:5], v[4:5], off offset:1120
	s_waitcnt lgkmcnt(0)
	v_sub_f32_e32 v1, v28, v30
	v_add_f32_e32 v8, v29, v31
	v_sub_f32_e32 v13, v29, v31
	v_mul_f32_e32 v1, 0.5, v1
	v_mul_f32_e32 v32, 0.5, v8
	v_mul_f32_e32 v8, 0.5, v13
	v_add_f32_e32 v13, v28, v30
	s_waitcnt vmcnt(6)
	v_mul_f32_e32 v28, v7, v1
	v_fma_f32 v30, v32, v7, v8
	v_fma_f32 v31, v32, v7, -v8
	v_fma_f32 v7, 0.5, v13, v28
	v_fma_f32 v13, v13, 0.5, -v28
	v_lshlrev_b64 v[28:29], 3, v[45:46]
	v_fma_f32 v8, -v6, v1, v30
	v_fma_f32 v31, -v6, v1, v31
	v_fmac_f32_e32 v7, v6, v32
	v_fma_f32 v30, -v6, v32, v13
	v_mov_b32_e32 v45, v41
	v_add_co_u32 v28, s0, s12, v28
	v_add_co_ci_u32_e64 v29, s0, s13, v29, s0
	ds_write_b64 v19, v[7:8]
	ds_write_b64 v0, v[30:31] offset:1160
	ds_read_b64 v[6:7], v33
	ds_read_b64 v[30:31], v0 offset:1120
	global_load_dwordx2 v[28:29], v[28:29], off offset:1120
	s_waitcnt lgkmcnt(0)
	v_sub_f32_e32 v1, v6, v30
	v_add_f32_e32 v8, v7, v31
	v_sub_f32_e32 v7, v7, v31
	v_add_f32_e32 v13, v6, v30
	v_lshlrev_b64 v[30:31], 3, v[44:45]
	v_mul_f32_e32 v1, 0.5, v1
	v_mul_f32_e32 v8, 0.5, v8
	;; [unrolled: 1-line block ×3, first 2 shown]
	s_waitcnt vmcnt(6)
	v_mul_f32_e32 v19, v10, v1
	v_add_co_u32 v30, s0, s12, v30
	v_fma_f32 v32, v8, v10, v7
	v_fma_f32 v10, v8, v10, -v7
	v_fma_f32 v6, 0.5, v13, v19
	v_fma_f32 v13, v13, 0.5, -v19
	v_add_co_ci_u32_e64 v31, s0, s13, v31, s0
	v_fma_f32 v7, -v9, v1, v32
	v_fmac_f32_e32 v6, v9, v8
	v_fma_f32 v10, -v9, v1, v10
	v_fma_f32 v9, -v9, v8, v13
	ds_write_b64 v33, v[6:7]
	ds_write_b64 v0, v[9:10] offset:1120
	ds_read_b64 v[6:7], v18
	ds_read_b64 v[8:9], v0 offset:1080
	global_load_dwordx2 v[30:31], v[30:31], off offset:1120
	s_add_u32 s0, s12, 0x460
	s_addc_u32 s1, s13, 0
	s_waitcnt lgkmcnt(0)
	v_sub_f32_e32 v1, v6, v8
	v_add_f32_e32 v10, v7, v9
	v_sub_f32_e32 v7, v7, v9
	v_add_f32_e32 v8, v6, v8
	v_mul_f32_e32 v9, 0.5, v1
	v_lshlrev_b64 v[1:2], 3, v[2:3]
	v_mul_f32_e32 v10, 0.5, v10
	v_mul_f32_e32 v7, 0.5, v7
	s_waitcnt vmcnt(6)
	v_mul_f32_e32 v13, v12, v9
	v_add_co_u32 v1, s0, s0, v1
	v_fma_f32 v3, v10, v12, v7
	v_fma_f32 v12, v10, v12, -v7
	v_fma_f32 v6, 0.5, v8, v13
	v_fma_f32 v8, v8, 0.5, -v13
	v_add_co_ci_u32_e64 v2, s0, s1, v2, s0
	v_fma_f32 v7, -v11, v9, v3
	v_fma_f32 v9, -v11, v9, v12
	v_fmac_f32_e32 v6, v11, v10
	v_fma_f32 v8, -v11, v10, v8
	global_load_dwordx2 v[10:11], v[1:2], off offset:400
	ds_write_b64 v18, v[6:7]
	ds_write_b64 v0, v[8:9] offset:1080
	ds_read_b64 v[6:7], v21
	ds_read_b64 v[8:9], v0 offset:1040
	s_waitcnt lgkmcnt(0)
	v_sub_f32_e32 v3, v6, v8
	v_add_f32_e32 v12, v7, v9
	v_sub_f32_e32 v7, v7, v9
	v_add_f32_e32 v8, v6, v8
	v_mul_f32_e32 v3, 0.5, v3
	v_mul_f32_e32 v12, 0.5, v12
	v_mul_f32_e32 v7, 0.5, v7
	s_waitcnt vmcnt(6)
	v_mul_f32_e32 v9, v23, v3
	v_fma_f32 v13, v12, v23, v7
	v_fma_f32 v18, v12, v23, -v7
	v_fma_f32 v6, 0.5, v8, v9
	v_fma_f32 v8, v8, 0.5, -v9
	v_fma_f32 v7, -v22, v3, v13
	v_fma_f32 v9, -v22, v3, v18
	v_fmac_f32_e32 v6, v22, v12
	v_fma_f32 v8, -v22, v12, v8
	global_load_dwordx2 v[12:13], v[1:2], off offset:440
	ds_write_b64 v21, v[6:7]
	ds_write_b64 v0, v[8:9] offset:1040
	ds_read_b64 v[6:7], v20
	ds_read_b64 v[8:9], v0 offset:1000
	s_waitcnt lgkmcnt(0)
	v_sub_f32_e32 v3, v6, v8
	v_add_f32_e32 v18, v7, v9
	v_sub_f32_e32 v7, v7, v9
	v_add_f32_e32 v8, v6, v8
	v_mul_f32_e32 v3, 0.5, v3
	v_mul_f32_e32 v18, 0.5, v18
	v_mul_f32_e32 v7, 0.5, v7
	s_waitcnt vmcnt(6)
	v_mul_f32_e32 v9, v25, v3
	v_fma_f32 v19, v18, v25, v7
	v_fma_f32 v21, v18, v25, -v7
	v_fma_f32 v6, 0.5, v8, v9
	v_fma_f32 v8, v8, 0.5, -v9
	;; [unrolled: 23-line block ×3, first 2 shown]
	v_fma_f32 v7, -v26, v3, v21
	v_fma_f32 v9, -v26, v3, v22
	v_fmac_f32_e32 v6, v26, v20
	v_fma_f32 v8, -v26, v20, v8
	global_load_dwordx2 v[20:21], v[1:2], off offset:520
	ds_write_b64 v15, v[6:7]
	ds_write_b64 v0, v[8:9] offset:960
	ds_read_b64 v[6:7], v16
	ds_read_b64 v[8:9], v0 offset:920
	global_load_dwordx2 v[1:2], v[1:2], off offset:560
	s_waitcnt lgkmcnt(0)
	v_sub_f32_e32 v3, v6, v8
	v_add_f32_e32 v15, v7, v9
	v_sub_f32_e32 v7, v7, v9
	v_add_f32_e32 v6, v6, v8
	v_mul_f32_e32 v3, 0.5, v3
	v_mul_f32_e32 v9, 0.5, v15
	;; [unrolled: 1-line block ×3, first 2 shown]
	s_waitcnt vmcnt(7)
	v_mul_f32_e32 v8, v5, v3
	v_fma_f32 v15, v9, v5, v7
	v_fma_f32 v7, v9, v5, -v7
	v_fma_f32 v5, 0.5, v6, v8
	v_fma_f32 v22, v6, 0.5, -v8
	v_fma_f32 v6, -v4, v3, v15
	v_fma_f32 v8, -v4, v3, v7
	v_fmac_f32_e32 v5, v4, v9
	v_fma_f32 v7, -v4, v9, v22
	ds_write_b64 v16, v[5:6]
	ds_write_b64 v0, v[7:8] offset:920
	ds_read_b64 v[3:4], v14
	ds_read_b64 v[5:6], v0 offset:880
	s_waitcnt lgkmcnt(0)
	v_sub_f32_e32 v7, v3, v5
	v_add_f32_e32 v8, v4, v6
	v_sub_f32_e32 v4, v4, v6
	v_add_f32_e32 v5, v3, v5
	v_mul_f32_e32 v6, 0.5, v7
	v_mul_f32_e32 v7, 0.5, v8
	;; [unrolled: 1-line block ×3, first 2 shown]
	s_waitcnt vmcnt(6)
	v_mul_f32_e32 v8, v29, v6
	v_fma_f32 v9, v7, v29, v4
	v_fma_f32 v15, v7, v29, -v4
	v_fma_f32 v3, 0.5, v5, v8
	v_fma_f32 v5, v5, 0.5, -v8
	v_fma_f32 v4, -v28, v6, v9
	v_fma_f32 v6, -v28, v6, v15
	v_fmac_f32_e32 v3, v28, v7
	v_fma_f32 v5, -v28, v7, v5
	ds_write_b64 v14, v[3:4]
	ds_write_b64 v0, v[5:6] offset:880
	ds_read_b64 v[3:4], v17
	ds_read_b64 v[5:6], v0 offset:840
	s_waitcnt lgkmcnt(0)
	v_sub_f32_e32 v7, v3, v5
	v_add_f32_e32 v8, v4, v6
	v_sub_f32_e32 v4, v4, v6
	v_add_f32_e32 v5, v3, v5
	v_mul_f32_e32 v6, 0.5, v7
	v_mul_f32_e32 v7, 0.5, v8
	;; [unrolled: 1-line block ×3, first 2 shown]
	s_waitcnt vmcnt(5)
	v_mul_f32_e32 v8, v31, v6
	v_fma_f32 v9, v7, v31, v4
	v_fma_f32 v14, v7, v31, -v4
	v_fma_f32 v3, 0.5, v5, v8
	v_fma_f32 v5, v5, 0.5, -v8
	v_fma_f32 v4, -v30, v6, v9
	v_fma_f32 v6, -v30, v6, v14
	v_fmac_f32_e32 v3, v30, v7
	v_fma_f32 v5, -v30, v7, v5
	ds_write_b64 v17, v[3:4]
	ds_write_b64 v0, v[5:6] offset:840
	ds_read_b64 v[3:4], v58 offset:400
	ds_read_b64 v[5:6], v0 offset:800
	s_waitcnt lgkmcnt(0)
	v_sub_f32_e32 v7, v3, v5
	v_add_f32_e32 v8, v4, v6
	v_sub_f32_e32 v4, v4, v6
	v_add_f32_e32 v5, v3, v5
	v_mul_f32_e32 v6, 0.5, v7
	v_mul_f32_e32 v7, 0.5, v8
	v_mul_f32_e32 v4, 0.5, v4
	s_waitcnt vmcnt(4)
	v_mul_f32_e32 v8, v11, v6
	v_fma_f32 v9, v7, v11, v4
	v_fma_f32 v11, v7, v11, -v4
	v_fma_f32 v3, 0.5, v5, v8
	v_fma_f32 v5, v5, 0.5, -v8
	v_fma_f32 v4, -v10, v6, v9
	v_fma_f32 v6, -v10, v6, v11
	v_fmac_f32_e32 v3, v10, v7
	v_fma_f32 v5, -v10, v7, v5
	ds_write_b64 v58, v[3:4] offset:400
	ds_write_b64 v0, v[5:6] offset:800
	ds_read_b64 v[3:4], v58 offset:440
	ds_read_b64 v[5:6], v0 offset:760
	s_waitcnt lgkmcnt(0)
	v_sub_f32_e32 v7, v3, v5
	v_add_f32_e32 v8, v4, v6
	v_sub_f32_e32 v4, v4, v6
	v_add_f32_e32 v5, v3, v5
	v_mul_f32_e32 v6, 0.5, v7
	v_mul_f32_e32 v7, 0.5, v8
	v_mul_f32_e32 v4, 0.5, v4
	s_waitcnt vmcnt(3)
	v_mul_f32_e32 v8, v13, v6
	v_fma_f32 v9, v7, v13, v4
	v_fma_f32 v10, v7, v13, -v4
	v_fma_f32 v3, 0.5, v5, v8
	v_fma_f32 v5, v5, 0.5, -v8
	v_fma_f32 v4, -v12, v6, v9
	v_fma_f32 v6, -v12, v6, v10
	v_fmac_f32_e32 v3, v12, v7
	v_fma_f32 v5, -v12, v7, v5
	ds_write_b64 v58, v[3:4] offset:440
	ds_write_b64 v0, v[5:6] offset:760
	ds_read_b64 v[3:4], v58 offset:480
	ds_read_b64 v[5:6], v0 offset:720
	s_waitcnt lgkmcnt(0)
	v_sub_f32_e32 v7, v3, v5
	v_add_f32_e32 v8, v4, v6
	v_sub_f32_e32 v4, v4, v6
	v_add_f32_e32 v5, v3, v5
	v_mul_f32_e32 v6, 0.5, v7
	v_mul_f32_e32 v7, 0.5, v8
	v_mul_f32_e32 v4, 0.5, v4
	s_waitcnt vmcnt(2)
	v_mul_f32_e32 v8, v19, v6
	v_fma_f32 v9, v7, v19, v4
	v_fma_f32 v10, v7, v19, -v4
	v_fma_f32 v3, 0.5, v5, v8
	v_fma_f32 v5, v5, 0.5, -v8
	v_fma_f32 v4, -v18, v6, v9
	v_fma_f32 v6, -v18, v6, v10
	v_fmac_f32_e32 v3, v18, v7
	v_fma_f32 v5, -v18, v7, v5
	ds_write_b64 v58, v[3:4] offset:480
	ds_write_b64 v0, v[5:6] offset:720
	ds_read_b64 v[3:4], v58 offset:520
	ds_read_b64 v[5:6], v0 offset:680
	s_waitcnt lgkmcnt(0)
	v_sub_f32_e32 v7, v3, v5
	v_add_f32_e32 v8, v4, v6
	v_sub_f32_e32 v4, v4, v6
	v_add_f32_e32 v5, v3, v5
	v_mul_f32_e32 v6, 0.5, v7
	v_mul_f32_e32 v7, 0.5, v8
	v_mul_f32_e32 v4, 0.5, v4
	s_waitcnt vmcnt(1)
	v_mul_f32_e32 v8, v21, v6
	v_fma_f32 v9, v7, v21, v4
	v_fma_f32 v10, v7, v21, -v4
	v_fma_f32 v3, 0.5, v5, v8
	v_fma_f32 v5, v5, 0.5, -v8
	v_fma_f32 v4, -v20, v6, v9
	v_fma_f32 v6, -v20, v6, v10
	v_fmac_f32_e32 v3, v20, v7
	v_fma_f32 v5, -v20, v7, v5
	ds_write_b64 v58, v[3:4] offset:520
	ds_write_b64 v0, v[5:6] offset:680
	ds_read_b64 v[3:4], v58 offset:560
	ds_read_b64 v[5:6], v0 offset:640
	s_waitcnt lgkmcnt(0)
	v_sub_f32_e32 v7, v3, v5
	v_add_f32_e32 v8, v4, v6
	v_sub_f32_e32 v4, v4, v6
	v_add_f32_e32 v3, v3, v5
	v_mul_f32_e32 v6, 0.5, v7
	v_mul_f32_e32 v7, 0.5, v8
	v_mul_f32_e32 v4, 0.5, v4
	s_waitcnt vmcnt(0)
	v_mul_f32_e32 v5, v2, v6
	v_fma_f32 v8, v7, v2, v4
	v_fma_f32 v4, v7, v2, -v4
	v_fma_f32 v2, 0.5, v3, v5
	v_fma_f32 v9, v3, 0.5, -v5
	v_fma_f32 v3, -v1, v6, v8
	v_fma_f32 v5, -v1, v6, v4
	v_fmac_f32_e32 v2, v1, v7
	v_fma_f32 v4, -v1, v7, v9
	ds_write_b64 v58, v[2:3] offset:560
	ds_write_b64 v0, v[4:5] offset:640
	s_waitcnt lgkmcnt(0)
	s_barrier
	buffer_gl0_inv
	s_and_saveexec_b32 s0, vcc_lo
	s_cbranch_execz .LBB0_19
; %bb.17:
	v_mul_lo_u32 v2, s3, v42
	v_mul_lo_u32 v3, s2, v43
	v_mad_u64_u32 v[0:1], null, s2, v42, 0
	v_mov_b32_e32 v37, v41
	v_lshlrev_b64 v[7:8], 3, v[38:39]
	v_add_nc_u32_e32 v40, 5, v36
	v_lshlrev_b64 v[9:10], 3, v[36:37]
	v_add3_u32 v1, v1, v3, v2
	v_lshl_add_u32 v2, v36, 3, v57
	v_lshlrev_b64 v[11:12], 3, v[40:41]
	v_add_nc_u32_e32 v40, 10, v36
	v_lshlrev_b64 v[0:1], 3, v[0:1]
	ds_read2_b64 v[3:6], v2 offset1:5
	v_lshlrev_b64 v[13:14], 3, v[40:41]
	v_add_nc_u32_e32 v40, 15, v36
	v_add_co_u32 v0, vcc_lo, s10, v0
	v_add_co_ci_u32_e32 v1, vcc_lo, s11, v1, vcc_lo
	v_add_co_u32 v0, vcc_lo, v0, v7
	v_add_co_ci_u32_e32 v1, vcc_lo, v1, v8, vcc_lo
	;; [unrolled: 2-line block ×4, first 2 shown]
	ds_read2_b64 v[7:10], v2 offset0:10 offset1:15
	s_waitcnt lgkmcnt(1)
	global_store_dwordx2 v[15:16], v[3:4], off
	global_store_dwordx2 v[11:12], v[5:6], off
	ds_read2_b64 v[3:6], v2 offset0:20 offset1:25
	v_lshlrev_b64 v[11:12], 3, v[40:41]
	v_add_nc_u32_e32 v40, 20, v36
	v_add_co_u32 v13, vcc_lo, v0, v13
	v_add_co_ci_u32_e32 v14, vcc_lo, v1, v14, vcc_lo
	v_lshlrev_b64 v[15:16], 3, v[40:41]
	v_add_co_u32 v11, vcc_lo, v0, v11
	v_add_co_ci_u32_e32 v12, vcc_lo, v1, v12, vcc_lo
	v_add_nc_u32_e32 v40, 25, v36
	v_add_co_u32 v15, vcc_lo, v0, v15
	v_add_co_ci_u32_e32 v16, vcc_lo, v1, v16, vcc_lo
	v_lshlrev_b64 v[17:18], 3, v[40:41]
	v_add_nc_u32_e32 v40, 30, v36
	s_waitcnt lgkmcnt(1)
	global_store_dwordx2 v[13:14], v[7:8], off
	global_store_dwordx2 v[11:12], v[9:10], off
	s_waitcnt lgkmcnt(0)
	global_store_dwordx2 v[15:16], v[3:4], off
	ds_read2_b64 v[7:10], v2 offset0:30 offset1:35
	v_lshlrev_b64 v[3:4], 3, v[40:41]
	v_add_nc_u32_e32 v40, 35, v36
	v_add_co_u32 v11, vcc_lo, v0, v17
	v_add_co_ci_u32_e32 v12, vcc_lo, v1, v18, vcc_lo
	v_lshlrev_b64 v[13:14], 3, v[40:41]
	v_add_co_u32 v3, vcc_lo, v0, v3
	v_add_co_ci_u32_e32 v4, vcc_lo, v1, v4, vcc_lo
	v_add_nc_u32_e32 v40, 40, v36
	v_add_co_u32 v13, vcc_lo, v0, v13
	v_add_co_ci_u32_e32 v14, vcc_lo, v1, v14, vcc_lo
	v_lshlrev_b64 v[15:16], 3, v[40:41]
	v_add_nc_u32_e32 v40, 45, v36
	global_store_dwordx2 v[11:12], v[5:6], off
	s_waitcnt lgkmcnt(0)
	global_store_dwordx2 v[3:4], v[7:8], off
	global_store_dwordx2 v[13:14], v[9:10], off
	ds_read2_b64 v[3:6], v2 offset0:40 offset1:45
	ds_read2_b64 v[7:10], v2 offset0:50 offset1:55
	v_lshlrev_b64 v[11:12], 3, v[40:41]
	v_add_nc_u32_e32 v40, 50, v36
	v_add_co_u32 v13, vcc_lo, v0, v15
	v_add_co_ci_u32_e32 v14, vcc_lo, v1, v16, vcc_lo
	v_lshlrev_b64 v[15:16], 3, v[40:41]
	v_add_co_u32 v11, vcc_lo, v0, v11
	v_add_co_ci_u32_e32 v12, vcc_lo, v1, v12, vcc_lo
	v_add_nc_u32_e32 v40, 55, v36
	v_add_co_u32 v15, vcc_lo, v0, v15
	v_add_co_ci_u32_e32 v16, vcc_lo, v1, v16, vcc_lo
	v_lshlrev_b64 v[17:18], 3, v[40:41]
	v_add_nc_u32_e32 v40, 60, v36
	s_waitcnt lgkmcnt(1)
	global_store_dwordx2 v[13:14], v[3:4], off
	global_store_dwordx2 v[11:12], v[5:6], off
	s_waitcnt lgkmcnt(0)
	global_store_dwordx2 v[15:16], v[7:8], off
	ds_read2_b64 v[3:6], v2 offset0:60 offset1:65
	v_lshlrev_b64 v[7:8], 3, v[40:41]
	v_add_nc_u32_e32 v40, 0x41, v36
	v_add_co_u32 v11, vcc_lo, v0, v17
	v_add_co_ci_u32_e32 v12, vcc_lo, v1, v18, vcc_lo
	v_lshlrev_b64 v[13:14], 3, v[40:41]
	v_add_co_u32 v7, vcc_lo, v0, v7
	v_add_co_ci_u32_e32 v8, vcc_lo, v1, v8, vcc_lo
	v_add_nc_u32_e32 v40, 0x46, v36
	v_add_co_u32 v13, vcc_lo, v0, v13
	v_add_co_ci_u32_e32 v14, vcc_lo, v1, v14, vcc_lo
	v_lshlrev_b64 v[15:16], 3, v[40:41]
	v_add_nc_u32_e32 v40, 0x4b, v36
	global_store_dwordx2 v[11:12], v[9:10], off
	s_waitcnt lgkmcnt(0)
	global_store_dwordx2 v[7:8], v[3:4], off
	global_store_dwordx2 v[13:14], v[5:6], off
	ds_read2_b64 v[3:6], v2 offset0:70 offset1:75
	;; [unrolled: 36-line block ×3, first 2 shown]
	ds_read2_b64 v[7:10], v2 offset0:110 offset1:115
	v_lshlrev_b64 v[11:12], 3, v[40:41]
	v_add_nc_u32_e32 v40, 0x6e, v36
	v_add_co_u32 v13, vcc_lo, v0, v15
	v_add_co_ci_u32_e32 v14, vcc_lo, v1, v16, vcc_lo
	v_lshlrev_b64 v[15:16], 3, v[40:41]
	v_add_co_u32 v11, vcc_lo, v0, v11
	v_add_co_ci_u32_e32 v12, vcc_lo, v1, v12, vcc_lo
	v_add_nc_u32_e32 v40, 0x73, v36
	v_add_co_u32 v15, vcc_lo, v0, v15
	v_add_co_ci_u32_e32 v16, vcc_lo, v1, v16, vcc_lo
	v_lshlrev_b64 v[17:18], 3, v[40:41]
	v_add_nc_u32_e32 v40, 0x78, v36
	s_waitcnt lgkmcnt(1)
	global_store_dwordx2 v[13:14], v[3:4], off
	global_store_dwordx2 v[11:12], v[5:6], off
	s_waitcnt lgkmcnt(0)
	global_store_dwordx2 v[15:16], v[7:8], off
	ds_read2_b64 v[3:6], v2 offset0:120 offset1:125
	v_lshlrev_b64 v[7:8], 3, v[40:41]
	v_add_nc_u32_e32 v40, 0x7d, v36
	v_add_co_u32 v11, vcc_lo, v0, v17
	v_add_co_ci_u32_e32 v12, vcc_lo, v1, v18, vcc_lo
	v_lshlrev_b64 v[13:14], 3, v[40:41]
	v_add_nc_u32_e32 v40, 0x82, v36
	v_add_co_u32 v7, vcc_lo, v0, v7
	v_add_co_ci_u32_e32 v8, vcc_lo, v1, v8, vcc_lo
	v_add_co_u32 v13, vcc_lo, v0, v13
	v_lshlrev_b64 v[15:16], 3, v[40:41]
	v_add_nc_u32_e32 v40, 0x87, v36
	v_add_co_ci_u32_e32 v14, vcc_lo, v1, v14, vcc_lo
	global_store_dwordx2 v[11:12], v[9:10], off
	s_waitcnt lgkmcnt(0)
	global_store_dwordx2 v[7:8], v[3:4], off
	global_store_dwordx2 v[13:14], v[5:6], off
	v_lshlrev_b64 v[11:12], 3, v[40:41]
	v_add_nc_u32_e32 v40, 0x8c, v36
	v_add_co_u32 v13, vcc_lo, v0, v15
	ds_read2_b64 v[3:6], v2 offset0:130 offset1:135
	v_add_co_ci_u32_e32 v14, vcc_lo, v1, v16, vcc_lo
	v_lshlrev_b64 v[15:16], 3, v[40:41]
	v_add_nc_u32_e32 v40, 0x91, v36
	ds_read2_b64 v[7:10], v2 offset0:140 offset1:145
	v_add_co_u32 v11, vcc_lo, v0, v11
	v_add_co_ci_u32_e32 v12, vcc_lo, v1, v12, vcc_lo
	v_lshlrev_b64 v[17:18], 3, v[40:41]
	v_add_co_u32 v15, vcc_lo, v0, v15
	v_add_co_ci_u32_e32 v16, vcc_lo, v1, v16, vcc_lo
	v_add_co_u32 v17, vcc_lo, v0, v17
	v_add_co_ci_u32_e32 v18, vcc_lo, v1, v18, vcc_lo
	v_cmp_eq_u32_e32 vcc_lo, 4, v36
	s_waitcnt lgkmcnt(1)
	global_store_dwordx2 v[13:14], v[3:4], off
	global_store_dwordx2 v[11:12], v[5:6], off
	s_waitcnt lgkmcnt(0)
	global_store_dwordx2 v[15:16], v[7:8], off
	global_store_dwordx2 v[17:18], v[9:10], off
	s_and_b32 exec_lo, exec_lo, vcc_lo
	s_cbranch_execz .LBB0_19
; %bb.18:
	ds_read_b64 v[2:3], v2 offset:1168
	s_waitcnt lgkmcnt(0)
	global_store_dwordx2 v[0:1], v[2:3], off offset:1200
.LBB0_19:
	s_endpgm
	.section	.rodata,"a",@progbits
	.p2align	6, 0x0
	.amdhsa_kernel fft_rtc_fwd_len150_factors_10_5_3_wgs_60_tpt_5_halfLds_sp_op_CI_CI_unitstride_sbrr_R2C_dirReg
		.amdhsa_group_segment_fixed_size 0
		.amdhsa_private_segment_fixed_size 0
		.amdhsa_kernarg_size 104
		.amdhsa_user_sgpr_count 6
		.amdhsa_user_sgpr_private_segment_buffer 1
		.amdhsa_user_sgpr_dispatch_ptr 0
		.amdhsa_user_sgpr_queue_ptr 0
		.amdhsa_user_sgpr_kernarg_segment_ptr 1
		.amdhsa_user_sgpr_dispatch_id 0
		.amdhsa_user_sgpr_flat_scratch_init 0
		.amdhsa_user_sgpr_private_segment_size 0
		.amdhsa_wavefront_size32 1
		.amdhsa_uses_dynamic_stack 0
		.amdhsa_system_sgpr_private_segment_wavefront_offset 0
		.amdhsa_system_sgpr_workgroup_id_x 1
		.amdhsa_system_sgpr_workgroup_id_y 0
		.amdhsa_system_sgpr_workgroup_id_z 0
		.amdhsa_system_sgpr_workgroup_info 0
		.amdhsa_system_vgpr_workitem_id 0
		.amdhsa_next_free_vgpr 108
		.amdhsa_next_free_sgpr 27
		.amdhsa_reserve_vcc 1
		.amdhsa_reserve_flat_scratch 0
		.amdhsa_float_round_mode_32 0
		.amdhsa_float_round_mode_16_64 0
		.amdhsa_float_denorm_mode_32 3
		.amdhsa_float_denorm_mode_16_64 3
		.amdhsa_dx10_clamp 1
		.amdhsa_ieee_mode 1
		.amdhsa_fp16_overflow 0
		.amdhsa_workgroup_processor_mode 1
		.amdhsa_memory_ordered 1
		.amdhsa_forward_progress 0
		.amdhsa_shared_vgpr_count 0
		.amdhsa_exception_fp_ieee_invalid_op 0
		.amdhsa_exception_fp_denorm_src 0
		.amdhsa_exception_fp_ieee_div_zero 0
		.amdhsa_exception_fp_ieee_overflow 0
		.amdhsa_exception_fp_ieee_underflow 0
		.amdhsa_exception_fp_ieee_inexact 0
		.amdhsa_exception_int_div_zero 0
	.end_amdhsa_kernel
	.text
.Lfunc_end0:
	.size	fft_rtc_fwd_len150_factors_10_5_3_wgs_60_tpt_5_halfLds_sp_op_CI_CI_unitstride_sbrr_R2C_dirReg, .Lfunc_end0-fft_rtc_fwd_len150_factors_10_5_3_wgs_60_tpt_5_halfLds_sp_op_CI_CI_unitstride_sbrr_R2C_dirReg
                                        ; -- End function
	.section	.AMDGPU.csdata,"",@progbits
; Kernel info:
; codeLenInByte = 14028
; NumSgprs: 29
; NumVgprs: 108
; ScratchSize: 0
; MemoryBound: 0
; FloatMode: 240
; IeeeMode: 1
; LDSByteSize: 0 bytes/workgroup (compile time only)
; SGPRBlocks: 3
; VGPRBlocks: 13
; NumSGPRsForWavesPerEU: 29
; NumVGPRsForWavesPerEU: 108
; Occupancy: 9
; WaveLimiterHint : 1
; COMPUTE_PGM_RSRC2:SCRATCH_EN: 0
; COMPUTE_PGM_RSRC2:USER_SGPR: 6
; COMPUTE_PGM_RSRC2:TRAP_HANDLER: 0
; COMPUTE_PGM_RSRC2:TGID_X_EN: 1
; COMPUTE_PGM_RSRC2:TGID_Y_EN: 0
; COMPUTE_PGM_RSRC2:TGID_Z_EN: 0
; COMPUTE_PGM_RSRC2:TIDIG_COMP_CNT: 0
	.text
	.p2alignl 6, 3214868480
	.fill 48, 4, 3214868480
	.type	__hip_cuid_690de66e4e3900f4,@object ; @__hip_cuid_690de66e4e3900f4
	.section	.bss,"aw",@nobits
	.globl	__hip_cuid_690de66e4e3900f4
__hip_cuid_690de66e4e3900f4:
	.byte	0                               ; 0x0
	.size	__hip_cuid_690de66e4e3900f4, 1

	.ident	"AMD clang version 19.0.0git (https://github.com/RadeonOpenCompute/llvm-project roc-6.4.0 25133 c7fe45cf4b819c5991fe208aaa96edf142730f1d)"
	.section	".note.GNU-stack","",@progbits
	.addrsig
	.addrsig_sym __hip_cuid_690de66e4e3900f4
	.amdgpu_metadata
---
amdhsa.kernels:
  - .args:
      - .actual_access:  read_only
        .address_space:  global
        .offset:         0
        .size:           8
        .value_kind:     global_buffer
      - .offset:         8
        .size:           8
        .value_kind:     by_value
      - .actual_access:  read_only
        .address_space:  global
        .offset:         16
        .size:           8
        .value_kind:     global_buffer
      - .actual_access:  read_only
        .address_space:  global
        .offset:         24
        .size:           8
        .value_kind:     global_buffer
      - .actual_access:  read_only
        .address_space:  global
        .offset:         32
        .size:           8
        .value_kind:     global_buffer
      - .offset:         40
        .size:           8
        .value_kind:     by_value
      - .actual_access:  read_only
        .address_space:  global
        .offset:         48
        .size:           8
        .value_kind:     global_buffer
      - .actual_access:  read_only
        .address_space:  global
        .offset:         56
        .size:           8
        .value_kind:     global_buffer
      - .offset:         64
        .size:           4
        .value_kind:     by_value
      - .actual_access:  read_only
        .address_space:  global
        .offset:         72
        .size:           8
        .value_kind:     global_buffer
      - .actual_access:  read_only
        .address_space:  global
        .offset:         80
        .size:           8
        .value_kind:     global_buffer
      - .actual_access:  read_only
        .address_space:  global
        .offset:         88
        .size:           8
        .value_kind:     global_buffer
      - .actual_access:  write_only
        .address_space:  global
        .offset:         96
        .size:           8
        .value_kind:     global_buffer
    .group_segment_fixed_size: 0
    .kernarg_segment_align: 8
    .kernarg_segment_size: 104
    .language:       OpenCL C
    .language_version:
      - 2
      - 0
    .max_flat_workgroup_size: 60
    .name:           fft_rtc_fwd_len150_factors_10_5_3_wgs_60_tpt_5_halfLds_sp_op_CI_CI_unitstride_sbrr_R2C_dirReg
    .private_segment_fixed_size: 0
    .sgpr_count:     29
    .sgpr_spill_count: 0
    .symbol:         fft_rtc_fwd_len150_factors_10_5_3_wgs_60_tpt_5_halfLds_sp_op_CI_CI_unitstride_sbrr_R2C_dirReg.kd
    .uniform_work_group_size: 1
    .uses_dynamic_stack: false
    .vgpr_count:     108
    .vgpr_spill_count: 0
    .wavefront_size: 32
    .workgroup_processor_mode: 1
amdhsa.target:   amdgcn-amd-amdhsa--gfx1030
amdhsa.version:
  - 1
  - 2
...

	.end_amdgpu_metadata
